;; amdgpu-corpus repo=ROCm/rocFFT kind=compiled arch=gfx1201 opt=O3
	.text
	.amdgcn_target "amdgcn-amd-amdhsa--gfx1201"
	.amdhsa_code_object_version 6
	.protected	fft_rtc_fwd_len1701_factors_3_3_3_3_3_7_wgs_63_tpt_63_halfLds_dp_ip_CI_unitstride_sbrr_dirReg ; -- Begin function fft_rtc_fwd_len1701_factors_3_3_3_3_3_7_wgs_63_tpt_63_halfLds_dp_ip_CI_unitstride_sbrr_dirReg
	.globl	fft_rtc_fwd_len1701_factors_3_3_3_3_3_7_wgs_63_tpt_63_halfLds_dp_ip_CI_unitstride_sbrr_dirReg
	.p2align	8
	.type	fft_rtc_fwd_len1701_factors_3_3_3_3_3_7_wgs_63_tpt_63_halfLds_dp_ip_CI_unitstride_sbrr_dirReg,@function
fft_rtc_fwd_len1701_factors_3_3_3_3_3_7_wgs_63_tpt_63_halfLds_dp_ip_CI_unitstride_sbrr_dirReg: ; @fft_rtc_fwd_len1701_factors_3_3_3_3_3_7_wgs_63_tpt_63_halfLds_dp_ip_CI_unitstride_sbrr_dirReg
; %bb.0:
	s_clause 0x2
	s_load_b128 s[4:7], s[0:1], 0x0
	s_load_b64 s[8:9], s[0:1], 0x50
	s_load_b64 s[10:11], s[0:1], 0x18
	v_mul_u32_u24_e32 v1, 0x411, v0
	v_mov_b32_e32 v3, 0
	s_delay_alu instid0(VALU_DEP_2) | instskip(NEXT) | instid1(VALU_DEP_1)
	v_lshrrev_b32_e32 v1, 16, v1
	v_add_nc_u32_e32 v5, ttmp9, v1
	v_mov_b32_e32 v1, 0
	v_mov_b32_e32 v2, 0
	;; [unrolled: 1-line block ×3, first 2 shown]
	s_wait_kmcnt 0x0
	v_cmp_lt_u64_e64 s2, s[6:7], 2
	s_delay_alu instid0(VALU_DEP_1)
	s_and_b32 vcc_lo, exec_lo, s2
	s_cbranch_vccnz .LBB0_8
; %bb.1:
	s_load_b64 s[2:3], s[0:1], 0x10
	v_mov_b32_e32 v1, 0
	v_mov_b32_e32 v2, 0
	s_add_nc_u64 s[12:13], s[10:11], 8
	s_mov_b64 s[14:15], 1
	s_wait_kmcnt 0x0
	s_add_nc_u64 s[16:17], s[2:3], 8
	s_mov_b32 s3, 0
.LBB0_2:                                ; =>This Inner Loop Header: Depth=1
	s_load_b64 s[18:19], s[16:17], 0x0
                                        ; implicit-def: $vgpr7_vgpr8
	s_mov_b32 s2, exec_lo
	s_wait_kmcnt 0x0
	v_or_b32_e32 v4, s19, v6
	s_delay_alu instid0(VALU_DEP_1)
	v_cmpx_ne_u64_e32 0, v[3:4]
	s_wait_alu 0xfffe
	s_xor_b32 s20, exec_lo, s2
	s_cbranch_execz .LBB0_4
; %bb.3:                                ;   in Loop: Header=BB0_2 Depth=1
	s_cvt_f32_u32 s2, s18
	s_cvt_f32_u32 s21, s19
	s_sub_nc_u64 s[24:25], 0, s[18:19]
	s_wait_alu 0xfffe
	s_delay_alu instid0(SALU_CYCLE_1) | instskip(SKIP_1) | instid1(SALU_CYCLE_2)
	s_fmamk_f32 s2, s21, 0x4f800000, s2
	s_wait_alu 0xfffe
	v_s_rcp_f32 s2, s2
	s_delay_alu instid0(TRANS32_DEP_1) | instskip(SKIP_1) | instid1(SALU_CYCLE_2)
	s_mul_f32 s2, s2, 0x5f7ffffc
	s_wait_alu 0xfffe
	s_mul_f32 s21, s2, 0x2f800000
	s_wait_alu 0xfffe
	s_delay_alu instid0(SALU_CYCLE_2) | instskip(SKIP_1) | instid1(SALU_CYCLE_2)
	s_trunc_f32 s21, s21
	s_wait_alu 0xfffe
	s_fmamk_f32 s2, s21, 0xcf800000, s2
	s_cvt_u32_f32 s23, s21
	s_wait_alu 0xfffe
	s_delay_alu instid0(SALU_CYCLE_1) | instskip(SKIP_1) | instid1(SALU_CYCLE_2)
	s_cvt_u32_f32 s22, s2
	s_wait_alu 0xfffe
	s_mul_u64 s[26:27], s[24:25], s[22:23]
	s_wait_alu 0xfffe
	s_mul_hi_u32 s29, s22, s27
	s_mul_i32 s28, s22, s27
	s_mul_hi_u32 s2, s22, s26
	s_mul_i32 s30, s23, s26
	s_wait_alu 0xfffe
	s_add_nc_u64 s[28:29], s[2:3], s[28:29]
	s_mul_hi_u32 s21, s23, s26
	s_mul_hi_u32 s31, s23, s27
	s_add_co_u32 s2, s28, s30
	s_wait_alu 0xfffe
	s_add_co_ci_u32 s2, s29, s21
	s_mul_i32 s26, s23, s27
	s_add_co_ci_u32 s27, s31, 0
	s_wait_alu 0xfffe
	s_add_nc_u64 s[26:27], s[2:3], s[26:27]
	s_wait_alu 0xfffe
	v_add_co_u32 v4, s2, s22, s26
	s_delay_alu instid0(VALU_DEP_1) | instskip(SKIP_1) | instid1(VALU_DEP_1)
	s_cmp_lg_u32 s2, 0
	s_add_co_ci_u32 s23, s23, s27
	v_readfirstlane_b32 s22, v4
	s_wait_alu 0xfffe
	s_delay_alu instid0(VALU_DEP_1)
	s_mul_u64 s[24:25], s[24:25], s[22:23]
	s_wait_alu 0xfffe
	s_mul_hi_u32 s27, s22, s25
	s_mul_i32 s26, s22, s25
	s_mul_hi_u32 s2, s22, s24
	s_mul_i32 s28, s23, s24
	s_wait_alu 0xfffe
	s_add_nc_u64 s[26:27], s[2:3], s[26:27]
	s_mul_hi_u32 s21, s23, s24
	s_mul_hi_u32 s22, s23, s25
	s_wait_alu 0xfffe
	s_add_co_u32 s2, s26, s28
	s_add_co_ci_u32 s2, s27, s21
	s_mul_i32 s24, s23, s25
	s_add_co_ci_u32 s25, s22, 0
	s_wait_alu 0xfffe
	s_add_nc_u64 s[24:25], s[2:3], s[24:25]
	s_wait_alu 0xfffe
	v_add_co_u32 v4, s2, v4, s24
	s_delay_alu instid0(VALU_DEP_1) | instskip(SKIP_1) | instid1(VALU_DEP_1)
	s_cmp_lg_u32 s2, 0
	s_add_co_ci_u32 s2, s23, s25
	v_mul_hi_u32 v13, v5, v4
	s_wait_alu 0xfffe
	v_mad_co_u64_u32 v[7:8], null, v5, s2, 0
	v_mad_co_u64_u32 v[9:10], null, v6, v4, 0
	;; [unrolled: 1-line block ×3, first 2 shown]
	s_delay_alu instid0(VALU_DEP_3) | instskip(SKIP_1) | instid1(VALU_DEP_4)
	v_add_co_u32 v4, vcc_lo, v13, v7
	s_wait_alu 0xfffd
	v_add_co_ci_u32_e32 v7, vcc_lo, 0, v8, vcc_lo
	s_delay_alu instid0(VALU_DEP_2) | instskip(SKIP_1) | instid1(VALU_DEP_2)
	v_add_co_u32 v4, vcc_lo, v4, v9
	s_wait_alu 0xfffd
	v_add_co_ci_u32_e32 v4, vcc_lo, v7, v10, vcc_lo
	s_wait_alu 0xfffd
	v_add_co_ci_u32_e32 v7, vcc_lo, 0, v12, vcc_lo
	s_delay_alu instid0(VALU_DEP_2) | instskip(SKIP_1) | instid1(VALU_DEP_2)
	v_add_co_u32 v4, vcc_lo, v4, v11
	s_wait_alu 0xfffd
	v_add_co_ci_u32_e32 v9, vcc_lo, 0, v7, vcc_lo
	s_delay_alu instid0(VALU_DEP_2) | instskip(SKIP_1) | instid1(VALU_DEP_3)
	v_mul_lo_u32 v10, s19, v4
	v_mad_co_u64_u32 v[7:8], null, s18, v4, 0
	v_mul_lo_u32 v11, s18, v9
	s_delay_alu instid0(VALU_DEP_2) | instskip(NEXT) | instid1(VALU_DEP_2)
	v_sub_co_u32 v7, vcc_lo, v5, v7
	v_add3_u32 v8, v8, v11, v10
	s_delay_alu instid0(VALU_DEP_1) | instskip(SKIP_1) | instid1(VALU_DEP_1)
	v_sub_nc_u32_e32 v10, v6, v8
	s_wait_alu 0xfffd
	v_subrev_co_ci_u32_e64 v10, s2, s19, v10, vcc_lo
	v_add_co_u32 v11, s2, v4, 2
	s_wait_alu 0xf1ff
	v_add_co_ci_u32_e64 v12, s2, 0, v9, s2
	v_sub_co_u32 v13, s2, v7, s18
	v_sub_co_ci_u32_e32 v8, vcc_lo, v6, v8, vcc_lo
	s_wait_alu 0xf1ff
	v_subrev_co_ci_u32_e64 v10, s2, 0, v10, s2
	s_delay_alu instid0(VALU_DEP_3) | instskip(NEXT) | instid1(VALU_DEP_3)
	v_cmp_le_u32_e32 vcc_lo, s18, v13
	v_cmp_eq_u32_e64 s2, s19, v8
	s_wait_alu 0xfffd
	v_cndmask_b32_e64 v13, 0, -1, vcc_lo
	v_cmp_le_u32_e32 vcc_lo, s19, v10
	s_wait_alu 0xfffd
	v_cndmask_b32_e64 v14, 0, -1, vcc_lo
	v_cmp_le_u32_e32 vcc_lo, s18, v7
	;; [unrolled: 3-line block ×3, first 2 shown]
	s_wait_alu 0xfffd
	v_cndmask_b32_e64 v15, 0, -1, vcc_lo
	v_cmp_eq_u32_e32 vcc_lo, s19, v10
	s_wait_alu 0xf1ff
	s_delay_alu instid0(VALU_DEP_2)
	v_cndmask_b32_e64 v7, v15, v7, s2
	s_wait_alu 0xfffd
	v_cndmask_b32_e32 v10, v14, v13, vcc_lo
	v_add_co_u32 v13, vcc_lo, v4, 1
	s_wait_alu 0xfffd
	v_add_co_ci_u32_e32 v14, vcc_lo, 0, v9, vcc_lo
	s_delay_alu instid0(VALU_DEP_3) | instskip(SKIP_2) | instid1(VALU_DEP_3)
	v_cmp_ne_u32_e32 vcc_lo, 0, v10
	s_wait_alu 0xfffd
	v_cndmask_b32_e32 v10, v13, v11, vcc_lo
	v_cndmask_b32_e32 v8, v14, v12, vcc_lo
	v_cmp_ne_u32_e32 vcc_lo, 0, v7
	s_wait_alu 0xfffd
	s_delay_alu instid0(VALU_DEP_2)
	v_dual_cndmask_b32 v7, v4, v10 :: v_dual_cndmask_b32 v8, v9, v8
.LBB0_4:                                ;   in Loop: Header=BB0_2 Depth=1
	s_wait_alu 0xfffe
	s_and_not1_saveexec_b32 s2, s20
	s_cbranch_execz .LBB0_6
; %bb.5:                                ;   in Loop: Header=BB0_2 Depth=1
	v_cvt_f32_u32_e32 v4, s18
	s_sub_co_i32 s20, 0, s18
	s_delay_alu instid0(VALU_DEP_1) | instskip(NEXT) | instid1(TRANS32_DEP_1)
	v_rcp_iflag_f32_e32 v4, v4
	v_mul_f32_e32 v4, 0x4f7ffffe, v4
	s_delay_alu instid0(VALU_DEP_1) | instskip(SKIP_1) | instid1(VALU_DEP_1)
	v_cvt_u32_f32_e32 v4, v4
	s_wait_alu 0xfffe
	v_mul_lo_u32 v7, s20, v4
	s_delay_alu instid0(VALU_DEP_1) | instskip(NEXT) | instid1(VALU_DEP_1)
	v_mul_hi_u32 v7, v4, v7
	v_add_nc_u32_e32 v4, v4, v7
	s_delay_alu instid0(VALU_DEP_1) | instskip(NEXT) | instid1(VALU_DEP_1)
	v_mul_hi_u32 v4, v5, v4
	v_mul_lo_u32 v7, v4, s18
	v_add_nc_u32_e32 v8, 1, v4
	s_delay_alu instid0(VALU_DEP_2) | instskip(NEXT) | instid1(VALU_DEP_1)
	v_sub_nc_u32_e32 v7, v5, v7
	v_subrev_nc_u32_e32 v9, s18, v7
	v_cmp_le_u32_e32 vcc_lo, s18, v7
	s_wait_alu 0xfffd
	s_delay_alu instid0(VALU_DEP_2) | instskip(NEXT) | instid1(VALU_DEP_1)
	v_dual_cndmask_b32 v7, v7, v9 :: v_dual_cndmask_b32 v4, v4, v8
	v_cmp_le_u32_e32 vcc_lo, s18, v7
	s_delay_alu instid0(VALU_DEP_2) | instskip(SKIP_1) | instid1(VALU_DEP_1)
	v_add_nc_u32_e32 v8, 1, v4
	s_wait_alu 0xfffd
	v_dual_cndmask_b32 v7, v4, v8 :: v_dual_mov_b32 v8, v3
.LBB0_6:                                ;   in Loop: Header=BB0_2 Depth=1
	s_wait_alu 0xfffe
	s_or_b32 exec_lo, exec_lo, s2
	s_load_b64 s[20:21], s[12:13], 0x0
	s_delay_alu instid0(VALU_DEP_1)
	v_mul_lo_u32 v4, v8, s18
	v_mul_lo_u32 v11, v7, s19
	v_mad_co_u64_u32 v[9:10], null, v7, s18, 0
	s_add_nc_u64 s[14:15], s[14:15], 1
	s_add_nc_u64 s[12:13], s[12:13], 8
	s_wait_alu 0xfffe
	v_cmp_ge_u64_e64 s2, s[14:15], s[6:7]
	s_add_nc_u64 s[16:17], s[16:17], 8
	s_delay_alu instid0(VALU_DEP_2) | instskip(NEXT) | instid1(VALU_DEP_3)
	v_add3_u32 v4, v10, v11, v4
	v_sub_co_u32 v5, vcc_lo, v5, v9
	s_wait_alu 0xfffd
	s_delay_alu instid0(VALU_DEP_2) | instskip(SKIP_3) | instid1(VALU_DEP_2)
	v_sub_co_ci_u32_e32 v4, vcc_lo, v6, v4, vcc_lo
	s_and_b32 vcc_lo, exec_lo, s2
	s_wait_kmcnt 0x0
	v_mul_lo_u32 v6, s21, v5
	v_mul_lo_u32 v4, s20, v4
	v_mad_co_u64_u32 v[1:2], null, s20, v5, v[1:2]
	s_delay_alu instid0(VALU_DEP_1)
	v_add3_u32 v2, v6, v2, v4
	s_wait_alu 0xfffe
	s_cbranch_vccnz .LBB0_9
; %bb.7:                                ;   in Loop: Header=BB0_2 Depth=1
	v_dual_mov_b32 v5, v7 :: v_dual_mov_b32 v6, v8
	s_branch .LBB0_2
.LBB0_8:
	v_dual_mov_b32 v8, v6 :: v_dual_mov_b32 v7, v5
.LBB0_9:
	s_lshl_b64 s[2:3], s[6:7], 3
	v_mul_hi_u32 v5, 0x4104105, v0
	s_wait_alu 0xfffe
	s_add_nc_u64 s[2:3], s[10:11], s[2:3]
                                        ; implicit-def: $vgpr84_vgpr85
                                        ; implicit-def: $vgpr96_vgpr97
                                        ; implicit-def: $vgpr88_vgpr89
                                        ; implicit-def: $vgpr68_vgpr69
                                        ; implicit-def: $vgpr92_vgpr93
                                        ; implicit-def: $vgpr80_vgpr81
                                        ; implicit-def: $vgpr60_vgpr61
                                        ; implicit-def: $vgpr72_vgpr73
                                        ; implicit-def: $vgpr76_vgpr77
                                        ; implicit-def: $vgpr44_vgpr45
                                        ; implicit-def: $vgpr64_vgpr65
                                        ; implicit-def: $vgpr56_vgpr57
                                        ; implicit-def: $vgpr32_vgpr33
                                        ; implicit-def: $vgpr40_vgpr41
                                        ; implicit-def: $vgpr48_vgpr49
                                        ; implicit-def: $vgpr52_vgpr53
                                        ; implicit-def: $vgpr108_vgpr109
                                        ; implicit-def: $vgpr28_vgpr29
                                        ; implicit-def: $vgpr36_vgpr37
                                        ; implicit-def: $vgpr100_vgpr101
                                        ; implicit-def: $vgpr24_vgpr25
                                        ; implicit-def: $vgpr16_vgpr17
                                        ; implicit-def: $vgpr20_vgpr21
                                        ; implicit-def: $vgpr12_vgpr13
                                        ; implicit-def: $vgpr104_vgpr105
	s_load_b64 s[2:3], s[2:3], 0x0
	s_load_b64 s[0:1], s[0:1], 0x20
	s_wait_kmcnt 0x0
	v_mul_lo_u32 v3, s2, v8
	v_mul_lo_u32 v4, s3, v7
	v_mad_co_u64_u32 v[1:2], null, s2, v7, v[1:2]
	v_cmp_gt_u64_e32 vcc_lo, s[0:1], v[7:8]
                                        ; implicit-def: $vgpr6_vgpr7
	s_delay_alu instid0(VALU_DEP_2) | instskip(SKIP_1) | instid1(VALU_DEP_2)
	v_add3_u32 v2, v4, v2, v3
	v_mul_u32_u24_e32 v3, 63, v5
	v_lshlrev_b64_e32 v[138:139], 4, v[1:2]
	s_delay_alu instid0(VALU_DEP_2)
	v_sub_nc_u32_e32 v136, v0, v3
                                        ; implicit-def: $vgpr2_vgpr3
	s_and_saveexec_b32 s1, vcc_lo
; %bb.10:
	v_mov_b32_e32 v137, 0
	s_delay_alu instid0(VALU_DEP_3) | instskip(SKIP_2) | instid1(VALU_DEP_3)
	v_add_co_u32 v2, s0, s8, v138
	s_wait_alu 0xf1ff
	v_add_co_ci_u32_e64 v3, s0, s9, v139, s0
	v_lshlrev_b64_e32 v[0:1], 4, v[136:137]
	s_delay_alu instid0(VALU_DEP_1) | instskip(SKIP_1) | instid1(VALU_DEP_2)
	v_add_co_u32 v8, s0, v2, v0
	s_wait_alu 0xf1ff
	v_add_co_ci_u32_e64 v9, s0, v3, v1, s0
	s_clause 0x1a
	global_load_b128 v[0:3], v[8:9], off
	global_load_b128 v[4:7], v[8:9], off offset:1008
	global_load_b128 v[10:13], v[8:9], off offset:18144
	;; [unrolled: 1-line block ×26, first 2 shown]
; %bb.11:
	s_wait_alu 0xfffe
	s_or_b32 exec_lo, exec_lo, s1
	s_wait_loadcnt 0x4
	v_add_f64_e32 v[8:9], v[10:11], v[102:103]
	v_add_f64_e32 v[110:111], v[14:15], v[18:19]
	;; [unrolled: 1-line block ×6, first 2 shown]
	s_wait_loadcnt 0x0
	v_add_f64_e32 v[124:125], v[82:83], v[94:95]
	v_add_f64_e32 v[118:119], v[42:43], v[62:63]
	;; [unrolled: 1-line block ×7, first 2 shown]
	v_add_f64_e64 v[140:141], v[104:105], -v[12:13]
	v_add_f64_e64 v[142:143], v[20:21], -v[16:17]
	v_add_f64_e32 v[144:145], v[38:39], v[46:47]
	v_add_f64_e32 v[148:149], v[70:71], v[74:75]
	;; [unrolled: 1-line block ×5, first 2 shown]
	s_mov_b32 s2, 0xe8584caa
	s_mov_b32 s3, 0x3febb67a
	;; [unrolled: 1-line block ×3, first 2 shown]
	s_wait_alu 0xfffe
	s_mov_b32 s6, s2
	v_add_f64_e32 v[128:129], v[100:101], v[24:25]
	v_add_f64_e64 v[98:99], v[98:99], -v[34:35]
	v_add_f64_e32 v[161:162], v[44:45], v[64:65]
	v_add_f64_e32 v[163:164], v[60:61], v[72:73]
	v_add_f64_e64 v[106:107], v[106:107], -v[50:51]
	v_add_f64_e32 v[165:166], v[68:69], v[92:93]
	v_add_f64_e32 v[167:168], v[84:85], v[96:97]
	v_mad_u32_u24 v150, v136, 24, 0
	v_lshl_add_u32 v151, v136, 3, 0
	v_cmp_gt_u32_e64 s0, 18, v136
	s_delay_alu instid0(VALU_DEP_3)
	v_add_nc_u32_e32 v137, 0xbd0, v150
	v_add_nc_u32_e32 v169, 0x11b8, v150
	v_fma_f64 v[0:1], v[8:9], -0.5, v[0:1]
	v_fma_f64 v[4:5], v[110:111], -0.5, v[4:5]
	v_add_f64_e64 v[8:9], v[100:101], -v[36:37]
	v_add_f64_e64 v[110:111], v[108:109], -v[52:53]
	v_fma_f64 v[22:23], v[112:113], -0.5, v[22:23]
	v_fma_f64 v[26:27], v[114:115], -0.5, v[26:27]
	v_add_f64_e64 v[112:113], v[40:41], -v[32:33]
	v_fma_f64 v[46:47], v[116:117], -0.5, v[46:47]
	v_add_f64_e64 v[116:117], v[72:73], -v[60:61]
	v_fma_f64 v[74:75], v[120:121], -0.5, v[74:75]
	v_add_f64_e64 v[120:121], v[96:97], -v[84:85]
	v_fma_f64 v[86:87], v[124:125], -0.5, v[86:87]
	v_add_f64_e64 v[114:115], v[64:65], -v[44:45]
	v_fma_f64 v[54:55], v[118:119], -0.5, v[54:55]
	v_add_f64_e64 v[118:119], v[92:93], -v[68:69]
	v_fma_f64 v[78:79], v[122:123], -0.5, v[78:79]
	v_add_f64_e32 v[100:101], v[36:37], v[100:101]
	v_add_f64_e32 v[124:125], v[104:105], v[2:3]
	;; [unrolled: 1-line block ×14, first 2 shown]
	v_add_nc_u32_e32 v170, 0xa00, v150
	v_add_nc_u32_e32 v171, 0x17a0, v150
	v_add_nc_u32_e32 v172, 0x1600, v150
	v_add_nc_u32_e32 v173, 0x1d90, v150
	v_add_nc_u32_e32 v174, 0x2378, v150
	v_add_nc_u32_e32 v175, 0x2960, v150
	v_add_nc_u32_e32 v176, 0x2f48, v150
	v_add_f64_e32 v[128:129], v[36:37], v[128:129]
	v_fma_f64 v[156:157], v[140:141], s[2:3], v[0:1]
	v_fma_f64 v[158:159], v[142:143], s[2:3], v[4:5]
	s_wait_alu 0xfffe
	v_fma_f64 v[0:1], v[140:141], s[6:7], v[0:1]
	v_fma_f64 v[4:5], v[142:143], s[6:7], v[4:5]
	;; [unrolled: 1-line block ×12, first 2 shown]
	v_add_f64_e32 v[120:121], v[32:33], v[40:41]
	v_fma_f64 v[110:111], v[114:115], s[2:3], v[54:55]
	v_fma_f64 v[54:55], v[114:115], s[6:7], v[54:55]
	;; [unrolled: 1-line block ×4, first 2 shown]
	v_add_f64_e32 v[118:119], v[16:17], v[20:21]
	v_fma_f64 v[24:25], v[100:101], -0.5, v[24:25]
	v_add_f64_e64 v[30:31], v[38:39], -v[30:31]
	v_add_f64_e32 v[36:37], v[64:65], v[56:57]
	v_add_f64_e64 v[58:59], v[70:71], -v[58:59]
	v_add_f64_e32 v[64:65], v[92:93], v[80:81]
	v_fma_f64 v[28:29], v[108:109], -0.5, v[28:29]
	v_add_f64_e32 v[20:21], v[20:21], v[6:7]
	v_add_f64_e64 v[14:15], v[18:19], -v[14:15]
	v_add_f64_e64 v[66:67], v[90:91], -v[66:67]
	v_fma_f64 v[70:71], v[165:166], -0.5, v[80:81]
	v_add_f64_e32 v[52:53], v[52:53], v[122:123]
	v_add_nc_u32_e32 v165, 63, v136
	v_add_nc_u32_e32 v152, 0x2400, v151
	;; [unrolled: 1-line block ×6, first 2 shown]
	ds_store_2addr_b64 v150, v[126:127], v[156:157] offset1:1
	ds_store_2addr_b64 v150, v[130:131], v[158:159] offset0:189 offset1:190
	ds_store_2addr_b64 v150, v[0:1], v[4:5] offset0:2 offset1:191
	ds_store_2addr_b64 v137, v[34:35], v[140:141] offset1:1
	ds_store_2addr_b64 v169, v[50:51], v[142:143] offset1:1
	ds_store_2addr_b64 v170, v[8:9], v[22:23] offset0:60 offset1:249
	ds_store_2addr_b64 v171, v[132:133], v[26:27] offset1:1
	ds_store_2addr_b64 v172, v[46:47], v[134:135] offset0:54 offset1:241
	ds_store_2addr_b64 v173, v[110:111], v[54:55] offset1:1
	ds_store_b64 v150, v[144:145] offset:9072
	ds_store_2addr_b64 v174, v[112:113], v[74:75] offset1:1
	ds_store_b64 v150, v[146:147] offset:10584
	;; [unrolled: 2-line block ×3, first 2 shown]
	ds_store_2addr_b64 v176, v[116:117], v[86:87] offset1:1
	v_add_f64_e64 v[22:23], v[102:103], -v[10:11]
	v_fma_f64 v[26:27], v[104:105], -0.5, v[2:3]
	v_add_f64_e32 v[34:35], v[40:41], v[48:49]
	v_add_f64_e64 v[46:47], v[62:63], -v[42:43]
	v_fma_f64 v[54:55], v[161:162], -0.5, v[56:57]
	v_fma_f64 v[38:39], v[120:121], -0.5, v[48:49]
	v_add_f64_e32 v[56:57], v[72:73], v[76:77]
	v_fma_f64 v[62:63], v[163:164], -0.5, v[76:77]
	v_add_f64_e32 v[72:73], v[96:97], v[88:89]
	v_add_f64_e64 v[74:75], v[94:95], -v[82:83]
	v_fma_f64 v[18:19], v[118:119], -0.5, v[6:7]
	v_fma_f64 v[76:77], v[167:168], -0.5, v[88:89]
	v_fma_f64 v[78:79], v[98:99], s[6:7], v[24:25]
	v_add_f64_e32 v[82:83], v[12:13], v[124:125]
	v_add_f64_e32 v[102:103], v[44:45], v[36:37]
	v_fma_f64 v[98:99], v[98:99], s[2:3], v[24:25]
	v_fma_f64 v[80:81], v[106:107], s[6:7], v[28:29]
	v_add_f64_e32 v[86:87], v[16:17], v[20:21]
	v_fma_f64 v[100:101], v[106:107], s[2:3], v[28:29]
	v_and_b32_e32 v134, 0xff, v136
	v_add_nc_u32_e32 v142, 0x1400, v151
	v_add_nc_u32_e32 v156, 0x2800, v151
	v_and_b32_e32 v135, 0xff, v165
	v_add_nc_u32_e32 v157, 0x1800, v151
	v_add_nc_u32_e32 v158, 0x800, v151
	;; [unrolled: 1-line block ×4, first 2 shown]
	global_wb scope:SCOPE_SE
	s_wait_dscnt 0x0
	s_barrier_signal -1
	s_barrier_wait -1
	global_inv scope:SCOPE_SE
	ds_load_b64 v[132:133], v151 offset:13104
	ds_load_2addr_b64 v[8:11], v151 offset1:63
	ds_load_2addr_b64 v[0:3], v154 offset0:120 offset1:183
	ds_load_2addr_b64 v[48:51], v153 offset0:110 offset1:173
	;; [unrolled: 1-line block ×4, first 2 shown]
	v_add_nc_u32_e32 v144, 0xfc, v136
	v_add_nc_u32_e32 v145, 0x13b, v136
	;; [unrolled: 1-line block ×5, first 2 shown]
	v_and_b32_e32 v161, 0xffff, v144
	v_and_b32_e32 v149, 0xffff, v145
	v_fma_f64 v[90:91], v[22:23], s[6:7], v[26:27]
	v_add_f64_e32 v[88:89], v[32:33], v[34:35]
	v_fma_f64 v[94:95], v[22:23], s[2:3], v[26:27]
	v_fma_f64 v[108:109], v[46:47], s[6:7], v[54:55]
	;; [unrolled: 1-line block ×3, first 2 shown]
	v_add_f64_e32 v[56:57], v[60:61], v[56:57]
	v_fma_f64 v[60:61], v[58:59], s[6:7], v[62:63]
	v_fma_f64 v[58:59], v[58:59], s[2:3], v[62:63]
	v_add_f64_e32 v[62:63], v[68:69], v[64:65]
	v_add_f64_e32 v[68:69], v[84:85], v[72:73]
	v_fma_f64 v[92:93], v[14:15], s[6:7], v[18:19]
	v_fma_f64 v[106:107], v[30:31], s[2:3], v[38:39]
	;; [unrolled: 1-line block ×8, first 2 shown]
	v_mul_lo_u16 v74, 0xab, v134
	ds_load_2addr_b64 v[44:47], v152 offset0:108 offset1:171
	ds_load_2addr_b64 v[36:39], v142 offset0:116 offset1:179
	;; [unrolled: 1-line block ×8, first 2 shown]
	global_wb scope:SCOPE_SE
	s_wait_dscnt 0x0
	v_lshrrev_b16 v141, 9, v74
	s_barrier_signal -1
	s_barrier_wait -1
	global_inv scope:SCOPE_SE
	ds_store_2addr_b64 v137, v[128:129], v[78:79] offset1:1
	ds_store_2addr_b64 v169, v[52:53], v[80:81] offset1:1
	v_mul_lo_u16 v52, 0xab, v135
	ds_store_2addr_b64 v150, v[82:83], v[90:91] offset1:1
	ds_store_2addr_b64 v150, v[86:87], v[92:93] offset0:189 offset1:190
	ds_store_2addr_b64 v150, v[94:95], v[96:97] offset0:2 offset1:191
	;; [unrolled: 1-line block ×3, first 2 shown]
	v_mul_lo_u16 v53, v141, 3
	ds_store_2addr_b64 v171, v[88:89], v[104:105] offset1:1
	ds_store_2addr_b64 v172, v[106:107], v[102:103] offset0:54 offset1:241
	ds_store_2addr_b64 v173, v[108:109], v[54:55] offset1:1
	ds_store_b64 v150, v[56:57] offset:9072
	ds_store_2addr_b64 v174, v[60:61], v[58:59] offset1:1
	ds_store_b64 v150, v[62:63] offset:10584
	;; [unrolled: 2-line block ×3, first 2 shown]
	v_add_nc_u32_e32 v150, 0xbd, v136
	v_add_nc_u32_e32 v137, 0x7e, v136
	v_lshrrev_b16 v168, 9, v52
	v_sub_nc_u16 v52, v136, v53
	ds_store_2addr_b64 v176, v[70:71], v[72:73] offset1:1
	v_and_b32_e32 v166, 0xff, v150
	v_and_b32_e32 v167, 0xff, v137
	v_mul_lo_u16 v53, v168, 3
	v_and_b32_e32 v169, 0xff, v52
	global_wb scope:SCOPE_SE
	s_wait_dscnt 0x0
	v_mul_lo_u16 v62, 0xab, v166
	v_mul_lo_u16 v52, 0xab, v167
	v_sub_nc_u16 v53, v165, v53
	v_lshlrev_b32_e32 v84, 5, v169
	s_barrier_signal -1
	v_lshrrev_b16 v173, 9, v62
	v_lshrrev_b16 v171, 9, v52
	v_and_b32_e32 v170, 0xff, v53
	s_barrier_wait -1
	global_inv scope:SCOPE_SE
	global_load_b128 v[52:55], v84, s[4:5] offset:16
	v_mul_lo_u16 v65, v173, 3
	v_mul_u32_u24_e32 v72, 0xaaab, v161
	v_mul_lo_u16 v61, v171, 3
	v_lshlrev_b32_e32 v60, 5, v170
	v_mul_u32_u24_e32 v78, 0xaaab, v149
	v_sub_nc_u16 v65, v150, v65
	v_lshrrev_b32_e32 v176, 17, v72
	v_sub_nc_u16 v61, v137, v61
	global_load_b128 v[56:59], v60, s[4:5] offset:16
	v_lshrrev_b32_e32 v177, 17, v78
	v_and_b32_e32 v174, 0xff, v65
	v_mul_lo_u16 v77, v176, 3
	v_and_b32_e32 v172, 0xff, v61
	v_and_b32_e32 v162, 0xffff, v146
	v_mul_lo_u16 v80, v177, 3
	v_lshlrev_b32_e32 v76, 5, v174
	v_sub_nc_u16 v77, v144, v77
	v_lshlrev_b32_e32 v64, 5, v172
	v_and_b32_e32 v164, 0xffff, v147
	v_sub_nc_u16 v86, v145, v80
	global_load_b128 v[72:75], v76, s[4:5] offset:16
	v_and_b32_e32 v175, 0xffff, v77
	s_clause 0x4
	global_load_b128 v[76:79], v76, s[4:5]
	global_load_b128 v[60:63], v60, s[4:5]
	;; [unrolled: 1-line block ×3, first 2 shown]
	global_load_b128 v[64:67], v64, s[4:5] offset:16
	global_load_b128 v[116:119], v84, s[4:5]
	v_lshlrev_b32_e32 v85, 5, v175
	v_mul_u32_u24_e32 v87, 0xaaab, v162
	v_and_b32_e32 v163, 0xffff, v148
	v_mul_u32_u24_e32 v84, 0xaaab, v164
	v_and_b32_e32 v183, 0xffff, v86
	s_clause 0x1
	global_load_b128 v[80:83], v85, s[4:5]
	global_load_b128 v[88:91], v85, s[4:5] offset:16
	v_lshrrev_b32_e32 v184, 17, v87
	v_mul_u32_u24_e32 v85, 0xaaab, v163
	v_lshrrev_b32_e32 v178, 17, v84
	v_lshlrev_b32_e32 v86, 5, v183
	v_mul_lo_u16 v140, v134, 57
	v_mul_lo_u16 v87, v184, 3
	v_lshrrev_b32_e32 v179, 17, v85
	v_mul_lo_u16 v92, v178, 3
	global_load_b128 v[100:103], v86, s[4:5] offset:16
	v_lshrrev_b16 v140, 9, v140
	v_sub_nc_u16 v93, v146, v87
	v_mul_lo_u16 v94, v179, 3
	v_sub_nc_u16 v92, v147, v92
	global_load_b128 v[84:87], v86, s[4:5]
	v_mul_u32_u24_e32 v205, 0x48, v176
	v_and_b32_e32 v180, 0xffff, v93
	v_sub_nc_u16 v93, v148, v94
	v_and_b32_e32 v181, 0xffff, v92
	v_mul_u32_u24_e32 v206, 0x48, v177
	v_mul_lo_u16 v201, v135, 57
	v_lshlrev_b32_e32 v92, 5, v180
	v_and_b32_e32 v182, 0xffff, v93
	v_lshlrev_b32_e32 v96, 5, v181
	v_mul_lo_u16 v202, v140, 9
	v_and_b32_e32 v168, 0xffff, v168
	global_load_b128 v[104:107], v92, s[4:5]
	v_lshlrev_b32_e32 v120, 5, v182
	s_clause 0x4
	global_load_b128 v[108:111], v92, s[4:5] offset:16
	global_load_b128 v[92:95], v96, s[4:5] offset:16
	global_load_b128 v[96:99], v96, s[4:5]
	global_load_b128 v[112:115], v120, s[4:5]
	global_load_b128 v[120:123], v120, s[4:5] offset:16
	ds_load_2addr_b64 v[185:188], v153 offset0:110 offset1:173
	ds_load_2addr_b64 v[128:131], v155 offset0:118 offset1:181
	;; [unrolled: 1-line block ×3, first 2 shown]
	v_sub_nc_u16 v208, v136, v202
	v_mul_u32_u24_e32 v207, 0x48, v184
	v_mul_u32_u24_e32 v184, 0x48, v168
	v_and_b32_e32 v171, 0xffff, v171
	v_and_b32_e32 v173, 0xffff, v173
	v_lshlrev_b32_e32 v172, 3, v172
	v_lshlrev_b32_e32 v174, 3, v174
	;; [unrolled: 1-line block ×3, first 2 shown]
	v_mul_u32_u24_e32 v171, 0x48, v171
	v_mul_u32_u24_e32 v173, 0x48, v173
	v_lshlrev_b32_e32 v170, 3, v170
	v_lshlrev_b32_e32 v183, 3, v183
	v_add3_u32 v205, 0, v205, v175
	v_add3_u32 v211, 0, v171, v172
	;; [unrolled: 1-line block ×5, first 2 shown]
	v_and_b32_e32 v170, 0xff, v208
	v_mul_lo_u16 v203, v167, 57
	v_mul_lo_u16 v134, v134, 19
	s_wait_loadcnt_dscnt 0x1102
	v_mul_f64_e32 v[189:190], v[185:186], v[54:55]
	v_mul_f64_e32 v[54:55], v[48:49], v[54:55]
	s_wait_loadcnt 0x10
	v_mul_f64_e32 v[191:192], v[187:188], v[58:59]
	v_mul_f64_e32 v[58:59], v[50:51], v[58:59]
	s_wait_loadcnt_dscnt 0xf00
	v_mul_f64_e32 v[199:200], v[126:127], v[74:75]
	v_mul_f64_e32 v[74:75], v[46:47], v[74:75]
	s_wait_loadcnt 0xd
	v_mul_f64_e32 v[193:194], v[128:129], v[62:63]
	s_wait_loadcnt 0xc
	v_mul_f64_e32 v[195:196], v[130:131], v[70:71]
	v_mul_f64_e32 v[70:71], v[42:43], v[70:71]
	;; [unrolled: 1-line block ×3, first 2 shown]
	s_wait_loadcnt 0xb
	v_mul_f64_e32 v[197:198], v[124:125], v[66:67]
	v_mul_f64_e32 v[66:67], v[44:45], v[66:67]
	v_fma_f64 v[189:190], v[48:49], v[52:53], -v[189:190]
	v_fma_f64 v[185:186], v[185:186], v[52:53], v[54:55]
	ds_load_2addr_b64 v[52:55], v142 offset0:116 offset1:179
	v_and_b32_e32 v48, 0xffff, v141
	v_lshrrev_b16 v141, 9, v201
	s_delay_alu instid0(VALU_DEP_2)
	v_mul_u32_u24_e32 v204, 0x48, v48
	v_fma_f64 v[191:192], v[50:51], v[56:57], -v[191:192]
	ds_load_2addr_b64 v[48:51], v154 offset0:120 offset1:183
	v_fma_f64 v[187:188], v[187:188], v[56:57], v[58:59]
	ds_load_2addr_b64 v[56:59], v156 offset0:106 offset1:169
	v_mul_lo_u16 v209, v141, 9
	s_wait_loadcnt_dscnt 0x902
	v_mul_f64_e32 v[201:202], v[54:55], v[82:83]
	v_fma_f64 v[176:177], v[40:41], v[60:61], -v[193:194]
	v_mul_f64_e32 v[193:194], v[52:53], v[78:79]
	v_mul_f64_e32 v[78:79], v[36:37], v[78:79]
	v_fma_f64 v[195:196], v[42:43], v[68:69], -v[195:196]
	v_fma_f64 v[68:69], v[130:131], v[68:69], v[70:71]
	v_mul_f64_e32 v[70:71], v[38:39], v[82:83]
	s_wait_dscnt 0x1
	v_mul_f64_e32 v[82:83], v[50:51], v[118:119]
	v_mul_f64_e32 v[118:119], v[2:3], v[118:119]
	v_fma_f64 v[128:129], v[128:129], v[60:61], v[62:63]
	v_lshlrev_b32_e32 v60, 3, v169
	ds_load_2addr_b64 v[40:43], v157 offset0:114 offset1:177
	v_fma_f64 v[130:131], v[44:45], v[64:65], -v[197:198]
	v_fma_f64 v[168:169], v[46:47], v[72:73], -v[199:200]
	ds_load_2addr_b64 v[44:47], v143 offset0:104 offset1:167
	v_add3_u32 v204, 0, v204, v60
	v_fma_f64 v[72:73], v[126:127], v[72:73], v[74:75]
	ds_load_2addr_b64 v[60:63], v159 offset0:112 offset1:175
	ds_load_b64 v[74:75], v151 offset:13104
	v_fma_f64 v[64:65], v[124:125], v[64:65], v[66:67]
	s_wait_loadcnt_dscnt 0x804
	v_mul_f64_e32 v[66:67], v[56:57], v[90:91]
	s_wait_loadcnt 0x7
	v_mul_f64_e32 v[124:125], v[58:59], v[102:103]
	v_mul_f64_e32 v[90:91], v[32:33], v[90:91]
	;; [unrolled: 1-line block ×3, first 2 shown]
	s_wait_loadcnt_dscnt 0x603
	v_mul_f64_e32 v[126:127], v[40:41], v[86:87]
	s_wait_loadcnt 0x5
	v_mul_f64_e32 v[172:173], v[42:43], v[106:107]
	s_wait_loadcnt_dscnt 0x302
	v_mul_f64_e32 v[183:184], v[46:47], v[94:95]
	v_mul_f64_e32 v[94:95], v[26:27], v[94:95]
	s_wait_loadcnt_dscnt 0x201
	v_mul_f64_e32 v[197:198], v[60:61], v[98:99]
	s_wait_loadcnt 0x1
	v_mul_f64_e32 v[199:200], v[62:63], v[114:115]
	v_mul_f64_e32 v[98:99], v[20:21], v[98:99]
	v_fma_f64 v[174:175], v[36:37], v[76:77], -v[193:194]
	v_fma_f64 v[76:77], v[52:53], v[76:77], v[78:79]
	v_mul_f64_e32 v[78:79], v[44:45], v[110:111]
	v_fma_f64 v[193:194], v[38:39], v[80:81], -v[201:202]
	v_fma_f64 v[54:55], v[54:55], v[80:81], v[70:71]
	s_wait_loadcnt_dscnt 0x0
	v_mul_f64_e32 v[70:71], v[74:75], v[122:123]
	v_mul_f64_e32 v[80:81], v[28:29], v[86:87]
	;; [unrolled: 1-line block ×4, first 2 shown]
	v_fma_f64 v[2:3], v[2:3], v[116:117], -v[82:83]
	v_fma_f64 v[82:83], v[50:51], v[116:117], v[118:119]
	v_mul_f64_e32 v[114:115], v[22:23], v[114:115]
	v_mul_f64_e32 v[116:117], v[132:133], v[122:123]
	v_lshlrev_b32_e32 v36, 3, v181
	v_lshlrev_b32_e32 v202, 5, v170
	v_fma_f64 v[66:67], v[32:33], v[88:89], -v[66:67]
	v_fma_f64 v[110:111], v[34:35], v[100:101], -v[124:125]
	v_fma_f64 v[56:57], v[56:57], v[88:89], v[90:91]
	v_fma_f64 v[58:59], v[58:59], v[100:101], v[102:103]
	v_mul_u32_u24_e32 v32, 0x48, v178
	v_mul_u32_u24_e32 v33, 0x48, v179
	v_lshlrev_b32_e32 v34, 3, v180
	v_sub_nc_u16 v35, v165, v209
	v_add_f64_e32 v[90:91], v[195:196], v[130:131]
	v_add_f64_e32 v[102:103], v[10:11], v[176:177]
	v_fma_f64 v[118:119], v[28:29], v[84:85], -v[126:127]
	v_fma_f64 v[88:89], v[30:31], v[104:105], -v[172:173]
	v_lshlrev_b32_e32 v28, 3, v182
	v_fma_f64 v[26:27], v[26:27], v[92:93], -v[183:184]
	v_fma_f64 v[46:47], v[46:47], v[92:93], v[94:95]
	v_add3_u32 v201, 0, v207, v34
	v_fma_f64 v[20:21], v[20:21], v[96:97], -v[197:198]
	v_fma_f64 v[22:23], v[22:23], v[112:113], -v[199:200]
	v_fma_f64 v[60:61], v[60:61], v[96:97], v[98:99]
	v_and_b32_e32 v171, 0xff, v35
	v_add3_u32 v207, 0, v32, v36
	v_fma_f64 v[24:25], v[24:25], v[108:109], -v[78:79]
	v_add3_u32 v208, 0, v33, v28
	ds_load_2addr_b64 v[32:35], v151 offset1:63
	v_fma_f64 v[70:71], v[132:133], v[120:121], -v[70:71]
	v_fma_f64 v[40:41], v[40:41], v[84:85], v[80:81]
	v_fma_f64 v[42:43], v[42:43], v[104:105], v[86:87]
	;; [unrolled: 1-line block ×3, first 2 shown]
	v_add_f64_e32 v[80:81], v[176:177], v[191:192]
	v_add_f64_e32 v[84:85], v[82:83], v[185:186]
	;; [unrolled: 1-line block ×3, first 2 shown]
	v_fma_f64 v[62:63], v[62:63], v[112:113], v[114:115]
	v_fma_f64 v[74:75], v[74:75], v[120:121], v[116:117]
	v_add_f64_e32 v[78:79], v[2:3], v[189:190]
	v_add_f64_e32 v[92:93], v[174:175], v[168:169]
	v_add_f64_e64 v[106:107], v[128:129], -v[187:188]
	v_add_f64_e32 v[94:95], v[8:9], v[2:3]
	v_add_f64_e32 v[96:97], v[193:194], v[66:67]
	;; [unrolled: 1-line block ×5, first 2 shown]
	v_add_f64_e64 v[100:101], v[82:83], -v[185:186]
	ds_load_2addr_b64 v[36:39], v151 offset0:126 offset1:189
	ds_load_2addr_b64 v[50:53], v160 offset0:124 offset1:187
	s_wait_dscnt 0x2
	v_add_f64_e32 v[104:105], v[34:35], v[128:129]
	v_add_f64_e32 v[82:83], v[32:33], v[82:83]
	ds_load_2addr_b64 v[28:31], v158 offset0:122 offset1:185
	v_add_f64_e32 v[108:109], v[4:5], v[195:196]
	v_add_f64_e32 v[114:115], v[6:7], v[174:175]
	;; [unrolled: 1-line block ×4, first 2 shown]
	v_add_f64_e64 v[126:127], v[54:55], -v[56:57]
	v_fma_f64 v[4:5], v[90:91], -0.5, v[4:5]
	v_add_f64_e64 v[2:3], v[2:3], -v[189:190]
	v_add_f64_e32 v[132:133], v[18:19], v[118:119]
	v_add_f64_e32 v[172:173], v[20:21], v[26:27]
	;; [unrolled: 1-line block ×4, first 2 shown]
	v_add_f64_e64 v[176:177], v[176:177], -v[191:192]
	v_add_f64_e64 v[112:113], v[68:69], -v[64:65]
	v_add_f64_e32 v[128:129], v[88:89], v[24:25]
	v_add_f64_e64 v[195:196], v[195:196], -v[130:131]
	s_wait_dscnt 0x2
	v_add_f64_e32 v[68:69], v[36:37], v[68:69]
	v_add_f64_e32 v[180:181], v[22:23], v[70:71]
	;; [unrolled: 1-line block ×3, first 2 shown]
	s_wait_dscnt 0x1
	v_add_f64_e32 v[54:55], v[50:51], v[54:55]
	v_add_f64_e32 v[122:123], v[38:39], v[76:77]
	v_fma_f64 v[10:11], v[80:81], -0.5, v[10:11]
	v_add_f64_e32 v[80:81], v[42:43], v[44:45]
	v_fma_f64 v[32:33], v[84:85], -0.5, v[32:33]
	v_add_f64_e32 v[84:85], v[60:61], v[46:47]
	v_fma_f64 v[34:35], v[86:87], -0.5, v[34:35]
	v_add_f64_e32 v[86:87], v[62:63], v[74:75]
	v_fma_f64 v[8:9], v[78:79], -0.5, v[8:9]
	v_add_f64_e32 v[78:79], v[14:15], v[20:21]
	v_fma_f64 v[6:7], v[92:93], -0.5, v[6:7]
	v_add_f64_e32 v[92:93], v[52:53], v[40:41]
	v_fma_f64 v[16:17], v[96:97], -0.5, v[16:17]
	v_add_f64_e64 v[96:97], v[42:43], -v[44:45]
	s_wait_dscnt 0x0
	v_add_f64_e32 v[42:43], v[28:29], v[42:43]
	v_add_f64_e64 v[40:41], v[40:41], -v[58:59]
	v_add_f64_e32 v[94:95], v[94:95], v[189:190]
	v_add_f64_e32 v[189:190], v[48:49], v[62:63]
	v_add_f64_e64 v[62:63], v[62:63], -v[74:75]
	v_fma_f64 v[36:37], v[116:117], -0.5, v[36:37]
	v_add_f64_e64 v[76:77], v[76:77], -v[72:73]
	v_add_f64_e64 v[174:175], v[174:175], -v[168:169]
	v_fma_f64 v[18:19], v[98:99], -0.5, v[18:19]
	v_add_f64_e32 v[98:99], v[30:31], v[60:61]
	v_add_f64_e64 v[60:61], v[60:61], -v[46:47]
	v_fma_f64 v[38:39], v[120:121], -0.5, v[38:39]
	v_add_f64_e64 v[193:194], v[193:194], -v[66:67]
	v_fma_f64 v[50:51], v[178:179], -0.5, v[50:51]
	v_fma_f64 v[14:15], v[172:173], -0.5, v[14:15]
	v_add_f64_e64 v[118:119], v[118:119], -v[110:111]
	v_add_f64_e64 v[88:89], v[88:89], -v[24:25]
	;; [unrolled: 1-line block ×4, first 2 shown]
	v_fma_f64 v[12:13], v[128:129], -0.5, v[12:13]
	v_add_f64_e32 v[70:71], v[90:91], v[70:71]
	v_add_f64_e32 v[102:103], v[102:103], v[191:192]
	v_fma_f64 v[0:1], v[180:181], -0.5, v[0:1]
	v_fma_f64 v[52:53], v[182:183], -0.5, v[52:53]
	v_add_f64_e32 v[54:55], v[54:55], v[56:57]
	v_add_f64_e32 v[108:109], v[108:109], v[130:131]
	;; [unrolled: 1-line block ×3, first 2 shown]
	v_fma_f64 v[28:29], v[80:81], -0.5, v[28:29]
	v_fma_f64 v[90:91], v[2:3], s[6:7], v[32:33]
	v_fma_f64 v[30:31], v[84:85], -0.5, v[30:31]
	v_add_f64_e32 v[80:81], v[104:105], v[187:188]
	v_fma_f64 v[48:49], v[86:87], -0.5, v[48:49]
	v_add_f64_e32 v[68:69], v[122:123], v[72:73]
	v_add_f64_e32 v[26:27], v[78:79], v[26:27]
	;; [unrolled: 1-line block ×4, first 2 shown]
	v_fma_f64 v[92:93], v[2:3], s[2:3], v[32:33]
	v_fma_f64 v[72:73], v[112:113], s[2:3], v[4:5]
	v_add_f64_e32 v[58:59], v[42:43], v[44:45]
	v_fma_f64 v[42:43], v[100:101], s[2:3], v[8:9]
	v_fma_f64 v[8:9], v[100:101], s[6:7], v[8:9]
	;; [unrolled: 1-line block ×9, first 2 shown]
	v_add_f64_e32 v[114:115], v[114:115], v[168:169]
	v_fma_f64 v[82:83], v[76:77], s[2:3], v[6:7]
	v_fma_f64 v[106:107], v[174:175], s[6:7], v[38:39]
	;; [unrolled: 1-line block ×6, first 2 shown]
	v_add_f64_e32 v[66:67], v[124:125], v[66:67]
	v_fma_f64 v[76:77], v[126:127], s[2:3], v[16:17]
	v_fma_f64 v[40:41], v[96:97], s[2:3], v[12:13]
	;; [unrolled: 1-line block ×6, first 2 shown]
	v_add_f64_e32 v[62:63], v[98:99], v[46:47]
	v_fma_f64 v[98:99], v[176:177], s[2:3], v[34:35]
	v_fma_f64 v[116:117], v[193:194], s[6:7], v[50:51]
	;; [unrolled: 1-line block ×4, first 2 shown]
	v_add_f64_e32 v[110:111], v[132:133], v[110:111]
	v_fma_f64 v[122:123], v[118:119], s[6:7], v[52:53]
	v_fma_f64 v[52:53], v[118:119], s[2:3], v[52:53]
	v_add_f64_e32 v[24:25], v[197:198], v[24:25]
	v_fma_f64 v[118:119], v[88:89], s[6:7], v[28:29]
	v_fma_f64 v[88:89], v[88:89], s[2:3], v[28:29]
	;; [unrolled: 1-line block ×4, first 2 shown]
	v_add_f64_e32 v[74:75], v[189:190], v[74:75]
	v_fma_f64 v[128:129], v[22:23], s[6:7], v[48:49]
	v_fma_f64 v[130:131], v[22:23], s[2:3], v[48:49]
	global_wb scope:SCOPE_SE
	s_barrier_signal -1
	s_barrier_wait -1
	global_inv scope:SCOPE_SE
	ds_store_2addr_b64 v204, v[94:95], v[42:43] offset1:3
	ds_store_b64 v204, v[8:9] offset:48
	ds_store_2addr_b64 v210, v[102:103], v[44:45] offset1:3
	ds_store_b64 v210, v[10:11] offset:48
	;; [unrolled: 2-line block ×9, first 2 shown]
	global_wb scope:SCOPE_SE
	s_wait_dscnt 0x0
	s_barrier_signal -1
	s_barrier_wait -1
	global_inv scope:SCOPE_SE
	ds_load_b64 v[132:133], v151 offset:13104
	ds_load_2addr_b64 v[16:19], v151 offset1:63
	ds_load_2addr_b64 v[0:3], v154 offset0:120 offset1:183
	ds_load_2addr_b64 v[48:51], v153 offset0:110 offset1:173
	;; [unrolled: 1-line block ×12, first 2 shown]
	global_wb scope:SCOPE_SE
	s_wait_dscnt 0x0
	s_barrier_signal -1
	s_barrier_wait -1
	global_inv scope:SCOPE_SE
	ds_store_2addr_b64 v204, v[78:79], v[90:91] offset1:3
	ds_store_b64 v204, v[92:93] offset:48
	ds_store_2addr_b64 v210, v[80:81], v[96:97] offset1:3
	ds_store_b64 v210, v[98:99] offset:48
	;; [unrolled: 2-line block ×9, first 2 shown]
	global_wb scope:SCOPE_SE
	s_wait_dscnt 0x0
	s_barrier_signal -1
	s_barrier_wait -1
	global_inv scope:SCOPE_SE
	global_load_b128 v[80:83], v202, s[4:5] offset:112
	v_lshlrev_b32_e32 v52, 5, v171
	v_lshrrev_b16 v172, 9, v203
	v_mul_lo_u16 v53, v166, 57
	v_mul_u32_u24_e32 v74, 0xe38f, v149
	v_mul_u32_u24_e32 v85, 0xe38f, v162
	s_clause 0x1
	global_load_b128 v[60:63], v52, s[4:5] offset:112
	global_load_b128 v[56:59], v52, s[4:5] offset:96
	v_mul_lo_u16 v54, v172, 9
	v_lshrrev_b16 v175, 9, v53
	v_lshrrev_b32_e32 v179, 19, v74
	v_lshrrev_b32_e32 v183, 19, v85
	v_mul_u32_u24_e32 v89, 0xe38f, v164
	v_sub_nc_u16 v54, v137, v54
	v_mul_lo_u16 v53, v175, 9
	v_mul_u32_u24_e32 v90, 0xe38f, v163
	v_mul_lo_u16 v93, v183, 9
	v_lshrrev_b32_e32 v184, 19, v89
	v_and_b32_e32 v173, 0xff, v54
	v_sub_nc_u16 v65, v150, v53
	v_lshrrev_b32_e32 v185, 19, v90
	v_sub_nc_u16 v93, v146, v93
	v_mul_lo_u16 v94, v184, 9
	v_lshlrev_b32_e32 v64, 5, v173
	v_and_b32_e32 v174, 0xff, v65
	v_mul_u32_u24_e32 v65, 0xe38f, v161
	v_mul_lo_u16 v95, v185, 9
	v_sub_nc_u16 v96, v147, v94
	s_clause 0x1
	global_load_b128 v[52:55], v64, s[4:5] offset:96
	global_load_b128 v[68:71], v64, s[4:5] offset:112
	v_lshrrev_b32_e32 v177, 19, v65
	v_lshlrev_b32_e32 v72, 5, v174
	v_and_b32_e32 v180, 0xffff, v93
	v_sub_nc_u16 v97, v148, v95
	v_and_b32_e32 v181, 0xffff, v96
	v_mul_lo_u16 v73, v177, 9
	s_clause 0x1
	global_load_b128 v[64:67], v72, s[4:5] offset:112
	global_load_b128 v[76:79], v72, s[4:5] offset:96
	v_mul_lo_u16 v72, v179, 9
	v_lshlrev_b32_e32 v96, 5, v180
	v_sub_nc_u16 v73, v144, v73
	v_and_b32_e32 v182, 0xffff, v97
	v_lshlrev_b32_e32 v100, 5, v181
	v_sub_nc_u16 v84, v145, v72
	global_load_b128 v[104:107], v96, s[4:5] offset:96
	v_and_b32_e32 v176, 0xffff, v73
	v_lshlrev_b32_e32 v120, 5, v182
	v_and_b32_e32 v206, 0xffff, v141
	v_and_b32_e32 v178, 0xffff, v84
	global_load_b128 v[84:87], v202, s[4:5] offset:96
	v_lshlrev_b32_e32 v88, 5, v176
	v_and_b32_e32 v172, 0xffff, v172
	v_mul_u32_u24_e32 v207, 0xd8, v185
	v_lshlrev_b32_e32 v92, 5, v178
	v_lshlrev_b32_e32 v171, 3, v171
	s_clause 0x1
	global_load_b128 v[72:75], v88, s[4:5] offset:96
	global_load_b128 v[108:111], v88, s[4:5] offset:112
	v_and_b32_e32 v175, 0xffff, v175
	s_clause 0x6
	global_load_b128 v[88:91], v92, s[4:5] offset:112
	global_load_b128 v[92:95], v92, s[4:5] offset:96
	;; [unrolled: 1-line block ×7, first 2 shown]
	ds_load_2addr_b64 v[186:189], v153 offset0:110 offset1:173
	ds_load_2addr_b64 v[128:131], v155 offset0:118 offset1:181
	;; [unrolled: 1-line block ×4, first 2 shown]
	v_mul_u32_u24_e32 v179, 0xd8, v179
	v_mul_u32_u24_e32 v177, 0xd8, v177
	v_mul_lo_u16 v204, v167, 19
	s_wait_loadcnt_dscnt 0x1103
	v_mul_f64_e32 v[168:169], v[186:187], v[82:83]
	v_mul_f64_e32 v[82:83], v[48:49], v[82:83]
	s_wait_loadcnt 0x10
	v_mul_f64_e32 v[194:195], v[188:189], v[62:63]
	v_mul_f64_e32 v[62:63], v[50:51], v[62:63]
	s_wait_loadcnt_dscnt 0xf02
	v_mul_f64_e32 v[196:197], v[128:129], v[58:59]
	v_mul_f64_e32 v[198:199], v[44:45], v[58:59]
	s_wait_loadcnt 0xe
	v_mul_f64_e32 v[58:59], v[130:131], v[54:55]
	v_mul_f64_e32 v[54:55], v[46:47], v[54:55]
	s_wait_loadcnt_dscnt 0xd01
	v_mul_f64_e32 v[200:201], v[124:125], v[70:71]
	v_mul_f64_e32 v[70:71], v[40:41], v[70:71]
	v_fma_f64 v[202:203], v[48:49], v[80:81], -v[168:169]
	v_mul_lo_u16 v48, v135, 19
	v_and_b32_e32 v49, 0xffff, v140
	v_lshrrev_b16 v168, 9, v134
	v_fma_f64 v[80:81], v[186:187], v[80:81], v[82:83]
	s_wait_loadcnt 0xc
	v_mul_f64_e32 v[82:83], v[126:127], v[66:67]
	v_lshrrev_b16 v169, 9, v48
	v_fma_f64 v[134:135], v[50:51], v[60:61], -v[194:195]
	v_mul_u32_u24_e32 v205, 0xd8, v49
	ds_load_2addr_b64 v[48:51], v154 offset0:120 offset1:183
	v_mul_f64_e32 v[66:67], v[42:43], v[66:67]
	s_wait_loadcnt_dscnt 0xb01
	v_mul_f64_e32 v[186:187], v[190:191], v[78:79]
	v_mul_f64_e32 v[78:79], v[36:37], v[78:79]
	v_fma_f64 v[140:141], v[188:189], v[60:61], v[62:63]
	v_fma_f64 v[188:189], v[44:45], v[56:57], -v[196:197]
	v_fma_f64 v[56:57], v[128:129], v[56:57], v[198:199]
	v_mul_u32_u24_e32 v198, 0xd8, v183
	s_wait_loadcnt 0x8
	v_mul_f64_e32 v[128:129], v[192:193], v[74:75]
	v_mul_f64_e32 v[74:75], v[38:39], v[74:75]
	v_mul_u32_u24_e32 v199, 0xd8, v184
	ds_load_2addr_b64 v[60:63], v156 offset0:106 offset1:169
	v_mul_lo_u16 v194, v168, 27
	v_mul_u32_u24_e32 v196, 0xd8, v206
	v_mul_u32_u24_e32 v197, 0xd8, v172
	v_lshlrev_b32_e32 v172, 3, v170
	v_lshlrev_b32_e32 v206, 3, v176
	v_sub_nc_u16 v185, v136, v194
	v_add3_u32 v209, 0, v196, v171
	v_fma_f64 v[58:59], v[46:47], v[52:53], -v[58:59]
	s_wait_dscnt 0x1
	v_mul_f64_e32 v[183:184], v[50:51], v[86:87]
	v_mul_f64_e32 v[86:87], v[2:3], v[86:87]
	ds_load_2addr_b64 v[44:47], v157 offset0:114 offset1:177
	v_fma_f64 v[130:131], v[130:131], v[52:53], v[54:55]
	ds_load_2addr_b64 v[52:55], v143 offset0:104 offset1:167
	v_fma_f64 v[194:195], v[40:41], v[68:69], -v[200:201]
	v_fma_f64 v[68:69], v[124:125], v[68:69], v[70:71]
	v_and_b32_e32 v170, 0xff, v185
	v_add3_u32 v201, 0, v205, v172
	v_lshlrev_b32_e32 v185, 3, v173
	v_lshlrev_b32_e32 v205, 3, v174
	s_wait_loadcnt_dscnt 0x702
	v_mul_f64_e32 v[70:71], v[60:61], v[110:111]
	s_wait_loadcnt 0x6
	v_mul_f64_e32 v[124:125], v[62:63], v[90:91]
	v_mul_f64_e32 v[110:111], v[32:33], v[110:111]
	v_fma_f64 v[82:83], v[42:43], v[64:65], -v[82:83]
	ds_load_2addr_b64 v[40:43], v159 offset0:112 offset1:175
	v_mul_u32_u24_e32 v200, 0xd8, v175
	v_add3_u32 v210, 0, v197, v185
	v_add3_u32 v206, 0, v177, v206
	v_fma_f64 v[64:65], v[126:127], v[64:65], v[66:67]
	ds_load_b64 v[66:67], v151 offset:13104
	v_fma_f64 v[173:174], v[36:37], v[76:77], -v[186:187]
	s_wait_loadcnt_dscnt 0x503
	v_mul_f64_e32 v[126:127], v[44:45], v[94:95]
	v_mul_f64_e32 v[171:172], v[46:47], v[106:107]
	v_fma_f64 v[76:77], v[190:191], v[76:77], v[78:79]
	s_wait_loadcnt_dscnt 0x402
	v_mul_f64_e32 v[78:79], v[52:53], v[114:115]
	v_fma_f64 v[128:129], v[38:39], v[72:73], -v[128:129]
	v_fma_f64 v[72:73], v[192:193], v[72:73], v[74:75]
	v_mul_f64_e32 v[74:75], v[34:35], v[90:91]
	v_mul_f64_e32 v[90:91], v[28:29], v[94:95]
	;; [unrolled: 1-line block ×4, first 2 shown]
	s_wait_loadcnt 0x3
	v_mul_f64_e32 v[175:176], v[54:55], v[98:99]
	s_wait_loadcnt 0x0
	v_mul_f64_e32 v[114:115], v[132:133], v[122:123]
	ds_load_2addr_b64 v[36:39], v151 offset0:126 offset1:189
	s_wait_dscnt 0x2
	v_mul_f64_e32 v[185:186], v[40:41], v[102:103]
	v_mul_f64_e32 v[190:191], v[42:43], v[118:119]
	v_mul_lo_u16 v208, v169, 27
	v_fma_f64 v[2:3], v[2:3], v[84:85], -v[183:184]
	v_fma_f64 v[50:51], v[50:51], v[84:85], v[86:87]
	v_mul_f64_e32 v[84:85], v[26:27], v[98:99]
	v_mul_f64_e32 v[86:87], v[20:21], v[102:103]
	s_wait_dscnt 0x1
	v_mul_f64_e32 v[196:197], v[66:67], v[122:123]
	v_mul_f64_e32 v[102:103], v[22:23], v[118:119]
	v_add3_u32 v200, 0, v200, v205
	v_sub_nc_u16 v205, v165, v208
	v_lshlrev_b32_e32 v208, 5, v170
	v_and_b32_e32 v169, 0xffff, v169
	v_fma_f64 v[70:71], v[32:33], v[108:109], -v[70:71]
	v_fma_f64 v[98:99], v[34:35], v[88:89], -v[124:125]
	v_fma_f64 v[60:61], v[60:61], v[108:109], v[110:111]
	v_lshlrev_b32_e32 v32, 3, v178
	v_lshlrev_b32_e32 v33, 3, v180
	;; [unrolled: 1-line block ×4, first 2 shown]
	s_wait_dscnt 0x0
	v_add_f64_e32 v[124:125], v[36:37], v[130:131]
	v_add3_u32 v211, 0, v179, v32
	v_add3_u32 v198, 0, v198, v33
	;; [unrolled: 1-line block ×3, first 2 shown]
	v_fma_f64 v[118:119], v[28:29], v[92:93], -v[126:127]
	v_fma_f64 v[108:109], v[30:31], v[104:105], -v[171:172]
	v_add3_u32 v207, 0, v207, v35
	v_fma_f64 v[78:79], v[24:25], v[112:113], -v[78:79]
	ds_load_2addr_b64 v[32:35], v151 offset1:63
	v_add_f64_e32 v[126:127], v[76:77], v[64:65]
	v_fma_f64 v[62:63], v[62:63], v[88:89], v[74:75]
	v_fma_f64 v[44:45], v[44:45], v[92:93], v[90:91]
	;; [unrolled: 1-line block ×4, first 2 shown]
	v_fma_f64 v[110:111], v[26:27], v[96:97], -v[175:176]
	v_add_f64_e32 v[88:89], v[188:189], v[134:135]
	v_fma_f64 v[66:67], v[66:67], v[120:121], v[114:115]
	v_fma_f64 v[20:21], v[20:21], v[100:101], -v[185:186]
	v_fma_f64 v[22:23], v[22:23], v[116:117], -v[190:191]
	v_add_f64_e32 v[90:91], v[58:59], v[194:195]
	v_add_f64_e32 v[74:75], v[2:3], v[202:203]
	;; [unrolled: 1-line block ×3, first 2 shown]
	v_fma_f64 v[54:55], v[54:55], v[96:97], v[84:85]
	v_fma_f64 v[40:41], v[40:41], v[100:101], v[86:87]
	v_fma_f64 v[122:123], v[132:133], v[120:121], -v[196:197]
	v_add_f64_e32 v[86:87], v[56:57], v[140:141]
	v_fma_f64 v[42:43], v[42:43], v[116:117], v[102:103]
	v_add_f64_e32 v[84:85], v[50:51], v[80:81]
	v_add_f64_e32 v[120:121], v[130:131], v[68:69]
	;; [unrolled: 1-line block ×5, first 2 shown]
	s_wait_dscnt 0x0
	v_add_f64_e32 v[106:107], v[34:35], v[56:57]
	v_add_f64_e32 v[181:182], v[72:73], v[60:61]
	ds_load_2addr_b64 v[28:31], v160 offset0:124 offset1:187
	ds_load_2addr_b64 v[24:27], v158 offset0:122 offset1:185
	v_add_f64_e64 v[96:97], v[50:51], -v[80:81]
	v_add_f64_e32 v[50:51], v[32:33], v[50:51]
	v_add_f64_e32 v[112:113], v[12:13], v[58:59]
	;; [unrolled: 1-line block ×3, first 2 shown]
	v_add_f64_e64 v[2:3], v[2:3], -v[202:203]
	v_add_f64_e64 v[56:57], v[56:57], -v[140:141]
	v_add_f64_e32 v[104:105], v[118:119], v[98:99]
	v_add_f64_e32 v[177:178], v[10:11], v[118:119]
	;; [unrolled: 1-line block ×5, first 2 shown]
	v_add_f64_e64 v[187:188], v[188:189], -v[134:135]
	v_add_f64_e64 v[114:115], v[130:131], -v[68:69]
	v_add_f64_e32 v[185:186], v[44:45], v[62:63]
	v_add_f64_e64 v[58:59], v[58:59], -v[194:195]
	v_add_f64_e32 v[130:131], v[38:39], v[76:77]
	v_add_f64_e64 v[76:77], v[76:77], -v[64:65]
	v_fma_f64 v[18:19], v[88:89], -0.5, v[18:19]
	v_add_f64_e64 v[171:172], v[72:73], -v[60:61]
	v_add_f64_e32 v[179:180], v[20:21], v[110:111]
	s_wait_dscnt 0x1
	v_add_f64_e32 v[72:73], v[28:29], v[72:73]
	v_fma_f64 v[12:13], v[90:91], -0.5, v[12:13]
	v_fma_f64 v[16:17], v[74:75], -0.5, v[16:17]
	v_add_f64_e32 v[74:75], v[46:47], v[52:53]
	v_fma_f64 v[14:15], v[92:93], -0.5, v[14:15]
	v_add_f64_e32 v[88:89], v[40:41], v[54:55]
	v_add_f64_e32 v[183:184], v[22:23], v[122:123]
	v_fma_f64 v[34:35], v[86:87], -0.5, v[34:35]
	v_add_f64_e32 v[86:87], v[42:43], v[66:67]
	v_fma_f64 v[32:33], v[84:85], -0.5, v[32:33]
	v_add_f64_e32 v[90:91], v[30:31], v[44:45]
	v_add_f64_e64 v[44:45], v[44:45], -v[62:63]
	v_add_f64_e64 v[92:93], v[46:47], -v[52:53]
	s_wait_dscnt 0x0
	v_add_f64_e32 v[46:47], v[24:25], v[46:47]
	v_fma_f64 v[8:9], v[102:103], -0.5, v[8:9]
	v_add_f64_e32 v[102:103], v[26:27], v[40:41]
	v_fma_f64 v[36:37], v[120:121], -0.5, v[36:37]
	v_add_f64_e32 v[192:193], v[6:7], v[20:21]
	v_add_f64_e64 v[173:174], v[173:174], -v[82:83]
	v_fma_f64 v[38:39], v[126:127], -0.5, v[38:39]
	v_add_f64_e64 v[128:129], v[128:129], -v[70:71]
	v_fma_f64 v[28:29], v[181:182], -0.5, v[28:29]
	v_add_f64_e32 v[84:85], v[0:1], v[22:23]
	v_add_f64_e64 v[118:119], v[118:119], -v[98:99]
	v_fma_f64 v[10:11], v[104:105], -0.5, v[10:11]
	v_add_f64_e32 v[104:105], v[48:49], v[42:43]
	v_add_f64_e64 v[108:109], v[108:109], -v[78:79]
	v_fma_f64 v[4:5], v[175:176], -0.5, v[4:5]
	v_add_f64_e64 v[40:41], v[40:41], -v[54:55]
	v_add_f64_e64 v[20:21], v[20:21], -v[110:111]
	;; [unrolled: 1-line block ×3, first 2 shown]
	v_fma_f64 v[30:31], v[185:186], -0.5, v[30:31]
	v_add_f64_e64 v[22:23], v[22:23], -v[122:123]
	v_add_f64_e32 v[94:95], v[94:95], v[202:203]
	v_add_f64_e32 v[80:81], v[50:51], v[80:81]
	;; [unrolled: 1-line block ×3, first 2 shown]
	v_fma_f64 v[50:51], v[56:57], s[2:3], v[18:19]
	v_fma_f64 v[6:7], v[179:180], -0.5, v[6:7]
	v_fma_f64 v[18:19], v[56:57], s[6:7], v[18:19]
	v_add_f64_e32 v[112:113], v[112:113], v[194:195]
	v_add_f64_e32 v[68:69], v[124:125], v[68:69]
	v_fma_f64 v[24:25], v[74:75], -0.5, v[24:25]
	v_fma_f64 v[56:57], v[114:115], s[2:3], v[12:13]
	v_fma_f64 v[26:27], v[88:89], -0.5, v[26:27]
	v_fma_f64 v[0:1], v[183:184], -0.5, v[0:1]
	v_fma_f64 v[12:13], v[114:115], s[6:7], v[12:13]
	v_fma_f64 v[48:49], v[86:87], -0.5, v[48:49]
	v_add_f64_e32 v[86:87], v[106:107], v[140:141]
	v_add_f64_e32 v[82:83], v[116:117], v[82:83]
	;; [unrolled: 1-line block ×5, first 2 shown]
	v_fma_f64 v[46:47], v[96:97], s[2:3], v[16:17]
	v_fma_f64 v[16:17], v[96:97], s[6:7], v[16:17]
	;; [unrolled: 1-line block ×3, first 2 shown]
	v_add_f64_e32 v[54:55], v[102:103], v[54:55]
	v_fma_f64 v[102:103], v[187:188], s[6:7], v[34:35]
	v_fma_f64 v[106:107], v[58:59], s[6:7], v[36:37]
	;; [unrolled: 1-line block ×3, first 2 shown]
	v_add_f64_e32 v[74:75], v[192:193], v[110:111]
	v_fma_f64 v[72:73], v[76:77], s[2:3], v[14:15]
	v_fma_f64 v[110:111], v[173:174], s[6:7], v[38:39]
	;; [unrolled: 1-line block ×4, first 2 shown]
	v_add_f64_e32 v[66:67], v[104:105], v[66:67]
	v_fma_f64 v[44:45], v[92:93], s[2:3], v[4:5]
	v_fma_f64 v[4:5], v[92:93], s[6:7], v[4:5]
	;; [unrolled: 1-line block ×6, first 2 shown]
	v_add_f64_e32 v[70:71], v[132:133], v[70:71]
	v_fma_f64 v[76:77], v[171:172], s[2:3], v[8:9]
	v_fma_f64 v[116:117], v[128:129], s[6:7], v[28:29]
	;; [unrolled: 1-line block ×4, first 2 shown]
	v_add_f64_e32 v[98:99], v[177:178], v[98:99]
	v_add_f64_e32 v[84:85], v[84:85], v[122:123]
	;; [unrolled: 1-line block ×3, first 2 shown]
	v_fma_f64 v[122:123], v[118:119], s[6:7], v[30:31]
	v_fma_f64 v[118:119], v[118:119], s[2:3], v[30:31]
	v_add_f64_e32 v[78:79], v[190:191], v[78:79]
	v_fma_f64 v[124:125], v[108:109], s[6:7], v[24:25]
	v_fma_f64 v[108:109], v[108:109], s[2:3], v[24:25]
	;; [unrolled: 1-line block ×10, first 2 shown]
	v_and_b32_e32 v171, 0xff, v205
	global_wb scope:SCOPE_SE
	s_barrier_signal -1
	s_barrier_wait -1
	global_inv scope:SCOPE_SE
	ds_store_2addr_b64 v201, v[94:95], v[46:47] offset1:9
	ds_store_b64 v201, v[16:17] offset:144
	ds_store_2addr_b64 v209, v[100:101], v[50:51] offset1:9
	ds_store_b64 v209, v[18:19] offset:144
	;; [unrolled: 2-line block ×9, first 2 shown]
	global_wb scope:SCOPE_SE
	s_wait_dscnt 0x0
	s_barrier_signal -1
	s_barrier_wait -1
	global_inv scope:SCOPE_SE
	ds_load_b64 v[140:141], v151 offset:13104
	ds_load_2addr_b64 v[12:15], v151 offset1:63
	ds_load_2addr_b64 v[0:3], v154 offset0:120 offset1:183
	ds_load_2addr_b64 v[48:51], v153 offset0:110 offset1:173
	;; [unrolled: 1-line block ×12, first 2 shown]
	global_wb scope:SCOPE_SE
	s_wait_dscnt 0x0
	s_barrier_signal -1
	s_barrier_wait -1
	global_inv scope:SCOPE_SE
	ds_store_2addr_b64 v201, v[80:81], v[92:93] offset1:9
	ds_store_b64 v201, v[96:97] offset:144
	ds_store_2addr_b64 v209, v[86:87], v[102:103] offset1:9
	ds_store_b64 v209, v[104:105] offset:144
	;; [unrolled: 2-line block ×9, first 2 shown]
	global_wb scope:SCOPE_SE
	s_wait_dscnt 0x0
	s_barrier_signal -1
	s_barrier_wait -1
	global_inv scope:SCOPE_SE
	global_load_b128 v[56:59], v208, s[4:5] offset:400
	v_lshlrev_b32_e32 v60, 5, v171
	v_lshrrev_b16 v172, 9, v204
	v_mul_u32_u24_e32 v63, 0x2f69, v161
	v_mul_lo_u16 v62, v166, 19
	v_mul_u32_u24_e32 v77, 0x2f69, v162
	s_clause 0x1
	global_load_b128 v[52:55], v60, s[4:5] offset:400
	global_load_b128 v[68:71], v60, s[4:5] offset:384
	v_mul_lo_u16 v61, v172, 27
	v_lshrrev_b32_e32 v72, 16, v63
	v_lshrrev_b16 v176, 9, v62
	v_mul_u32_u24_e32 v79, 0x2f69, v164
	v_mul_u32_u24_e32 v81, 0x2f69, v163
	v_sub_nc_u16 v61, v137, v61
	v_sub_nc_u16 v63, v144, v72
	v_mul_lo_u16 v60, v176, 27
	v_lshrrev_b32_e32 v77, 16, v77
	v_lshlrev_b32_e32 v196, 1, v136
	v_and_b32_e32 v174, 0xff, v61
	v_mul_u32_u24_e32 v61, 0x2f69, v149
	v_lshrrev_b16 v74, 1, v63
	v_sub_nc_u16 v75, v150, v60
	v_sub_nc_u16 v82, v146, v77
	v_lshlrev_b32_e32 v62, 5, v174
	v_lshrrev_b32_e32 v73, 16, v61
	v_add_nc_u16 v72, v74, v72
	v_and_b32_e32 v175, 0xff, v75
	v_mov_b32_e32 v197, 0
	global_load_b128 v[64:67], v62, s[4:5] offset:384
	v_sub_nc_u16 v76, v145, v73
	v_lshrrev_b16 v173, 4, v72
	v_and_b32_e32 v172, 0xffff, v172
	v_lshlrev_b64_e32 v[202:203], 4, v[196:197]
	v_and_b32_e32 v176, 0xffff, v176
	v_lshrrev_b16 v74, 1, v76
	v_lshlrev_b32_e32 v76, 5, v175
	v_mul_lo_u16 v80, v173, 27
	v_lshlrev_b32_e32 v174, 3, v174
	v_mul_u32_u24_e32 v176, 0x288, v176
	v_add_nc_u16 v78, v74, v73
	s_clause 0x2
	global_load_b128 v[116:119], v76, s[4:5] offset:384
	global_load_b128 v[60:63], v62, s[4:5] offset:400
	global_load_b128 v[72:75], v76, s[4:5] offset:400
	v_lshrrev_b16 v76, 1, v82
	v_lshrrev_b16 v180, 4, v78
	v_lshrrev_b32_e32 v78, 16, v79
	v_sub_nc_u16 v79, v144, v80
	v_lshrrev_b32_e32 v80, 16, v81
	v_add_nc_u16 v76, v76, v77
	v_mul_lo_u16 v81, v180, 27
	v_sub_nc_u16 v83, v147, v78
	v_and_b32_e32 v177, 0xffff, v79
	v_sub_nc_u16 v79, v148, v80
	v_lshrrev_b16 v183, 4, v76
	v_sub_nc_u16 v81, v145, v81
	v_lshrrev_b16 v83, 1, v83
	v_lshlrev_b32_e32 v82, 5, v177
	v_lshrrev_b16 v79, 1, v79
	v_lshlrev_b32_e32 v175, 3, v175
	v_and_b32_e32 v178, 0xffff, v81
	v_add_nc_u16 v77, v83, v78
	global_load_b128 v[120:123], v82, s[4:5] offset:384
	v_add_nc_u16 v80, v79, v80
	v_lshlrev_b32_e32 v81, 5, v178
	v_lshrrev_b16 v184, 4, v77
	s_clause 0x2
	global_load_b128 v[88:91], v82, s[4:5] offset:400
	global_load_b128 v[76:79], v81, s[4:5] offset:400
	;; [unrolled: 1-line block ×3, first 2 shown]
	v_mul_lo_u16 v82, v183, 27
	v_lshrrev_b16 v185, 4, v80
	v_mul_lo_u16 v80, v184, 27
	s_delay_alu instid0(VALU_DEP_3) | instskip(NEXT) | instid1(VALU_DEP_3)
	v_sub_nc_u16 v84, v146, v82
	v_mul_lo_u16 v85, v185, 27
	s_delay_alu instid0(VALU_DEP_3) | instskip(SKIP_4) | instid1(VALU_DEP_3)
	v_sub_nc_u16 v86, v147, v80
	global_load_b128 v[80:83], v81, s[4:5] offset:384
	v_and_b32_e32 v179, 0xffff, v84
	v_sub_nc_u16 v84, v148, v85
	v_and_b32_e32 v181, 0xffff, v86
	v_lshlrev_b32_e32 v85, 5, v179
	s_delay_alu instid0(VALU_DEP_3) | instskip(NEXT) | instid1(VALU_DEP_3)
	v_and_b32_e32 v182, 0xffff, v84
	v_lshlrev_b32_e32 v84, 5, v181
	s_clause 0x1
	global_load_b128 v[96:99], v85, s[4:5] offset:384
	global_load_b128 v[92:95], v85, s[4:5] offset:400
	v_lshlrev_b32_e32 v112, 5, v182
	s_clause 0x3
	global_load_b128 v[100:103], v84, s[4:5] offset:400
	global_load_b128 v[84:87], v84, s[4:5] offset:384
	;; [unrolled: 1-line block ×4, first 2 shown]
	ds_load_2addr_b64 v[132:135], v153 offset0:110 offset1:173
	ds_load_2addr_b64 v[128:131], v155 offset0:118 offset1:181
	ds_load_2addr_b64 v[124:127], v152 offset0:108 offset1:171
	ds_load_2addr_b64 v[186:189], v142 offset0:116 offset1:179
	s_wait_loadcnt_dscnt 0x1103
	v_mul_f64_e32 v[190:191], v[132:133], v[58:59]
	v_mul_f64_e32 v[58:59], v[48:49], v[58:59]
	s_wait_loadcnt 0x10
	v_mul_f64_e32 v[192:193], v[134:135], v[54:55]
	v_mul_f64_e32 v[194:195], v[50:51], v[54:55]
	v_subrev_nc_u32_e32 v54, 18, v136
	s_wait_loadcnt_dscnt 0xf02
	v_mul_f64_e32 v[198:199], v[128:129], v[70:71]
	v_mul_f64_e32 v[70:71], v[44:45], v[70:71]
	v_mul_lo_u16 v55, 0xcb, v167
	s_wait_alu 0xf1ff
	v_cndmask_b32_e64 v54, v54, v165, s0
	v_and_b32_e32 v165, 0xffff, v168
	s_delay_alu instid0(VALU_DEP_3) | instskip(NEXT) | instid1(VALU_DEP_3)
	v_lshrrev_b16 v215, 14, v55
	v_lshlrev_b32_e32 v196, 1, v54
	s_delay_alu instid0(VALU_DEP_3)
	v_mul_u32_u24_e32 v165, 0x288, v165
	s_wait_loadcnt 0xe
	v_mul_f64_e32 v[200:201], v[130:131], v[66:67]
	v_mul_f64_e32 v[66:67], v[46:47], v[66:67]
	v_fma_f64 v[190:191], v[48:49], v[56:57], -v[190:191]
	v_fma_f64 v[204:205], v[132:133], v[56:57], v[58:59]
	v_lshlrev_b64_e32 v[132:133], 4, v[196:197]
	v_add_co_u32 v48, s0, s4, v202
	s_wait_alu 0xf1ff
	v_add_co_ci_u32_e64 v49, s0, s5, v203, s0
	v_fma_f64 v[192:193], v[50:51], v[52:53], -v[192:193]
	s_delay_alu instid0(VALU_DEP_4)
	v_add_co_u32 v50, s0, s4, v132
	s_wait_loadcnt_dscnt 0xc01
	v_mul_f64_e32 v[167:168], v[124:125], v[62:63]
	v_mul_f64_e32 v[62:63], v[40:41], v[62:63]
	v_fma_f64 v[52:53], v[134:135], v[52:53], v[194:195]
	s_wait_alu 0xf1ff
	v_add_co_ci_u32_e64 v51, s0, s5, v133, s0
	ds_load_2addr_b64 v[132:135], v154 offset0:120 offset1:183
	s_wait_loadcnt 0xb
	v_mul_f64_e32 v[196:197], v[126:127], v[74:75]
	v_mul_f64_e32 v[74:75], v[42:43], v[74:75]
	v_mul_u32_u24_e32 v203, 0x288, v172
	v_lshlrev_b32_e32 v172, 3, v170
	v_fma_f64 v[194:195], v[44:45], v[68:69], -v[198:199]
	v_mul_u32_u24_e32 v202, 0x288, v169
	s_wait_dscnt 0x1
	v_mul_f64_e32 v[169:170], v[186:187], v[118:119]
	v_fma_f64 v[68:69], v[128:129], v[68:69], v[70:71]
	v_add3_u32 v198, 0, v165, v172
	v_lshlrev_b32_e32 v165, 3, v171
	v_mul_f64_e32 v[70:71], v[36:37], v[118:119]
	s_wait_loadcnt 0xa
	v_mul_f64_e32 v[128:129], v[188:189], v[122:123]
	v_mul_f64_e32 v[122:123], v[38:39], v[122:123]
	ds_load_2addr_b64 v[56:59], v156 offset0:106 offset1:169
	v_fma_f64 v[118:119], v[46:47], v[64:65], -v[200:201]
	ds_load_2addr_b64 v[44:47], v157 offset0:114 offset1:177
	v_mul_lo_u16 v199, 0xcb, v166
	v_add3_u32 v200, 0, v202, v165
	v_fma_f64 v[64:65], v[130:131], v[64:65], v[66:67]
	s_wait_loadcnt_dscnt 0x702
	v_mul_f64_e32 v[171:172], v[134:135], v[110:111]
	v_mul_f64_e32 v[110:111], v[2:3], v[110:111]
	v_add3_u32 v201, 0, v203, v174
	v_add3_u32 v202, 0, v176, v175
	v_and_b32_e32 v176, 0xffff, v184
	v_lshrrev_b16 v216, 14, v199
	v_cmp_lt_u32_e64 s0, 17, v136
	v_fma_f64 v[167:168], v[40:41], v[60:61], -v[167:168]
	v_fma_f64 v[124:125], v[124:125], v[60:61], v[62:63]
	ds_load_2addr_b64 v[60:63], v143 offset0:104 offset1:167
	s_wait_dscnt 0x2
	v_mul_f64_e32 v[66:67], v[56:57], v[90:91]
	v_mul_f64_e32 v[90:91], v[32:33], v[90:91]
	;; [unrolled: 1-line block ×3, first 2 shown]
	v_fma_f64 v[165:166], v[42:43], v[72:73], -v[196:197]
	ds_load_2addr_b64 v[40:43], v159 offset0:112 offset1:175
	v_fma_f64 v[72:73], v[126:127], v[72:73], v[74:75]
	ds_load_b64 v[74:75], v151 offset:13104
	v_and_b32_e32 v126, 0xffff, v173
	v_and_b32_e32 v127, 0xffff, v180
	s_wait_loadcnt_dscnt 0x603
	v_mul_f64_e32 v[174:175], v[44:45], v[82:83]
	v_mul_f64_e32 v[78:79], v[34:35], v[78:79]
	;; [unrolled: 1-line block ×3, first 2 shown]
	v_and_b32_e32 v173, 0xffff, v183
	v_mul_u32_u24_e32 v203, 0x288, v126
	v_mul_u32_u24_e32 v206, 0x288, v127
	s_wait_loadcnt 0x5
	v_mul_f64_e32 v[126:127], v[46:47], v[98:99]
	v_mul_f64_e32 v[98:99], v[30:31], v[98:99]
	v_and_b32_e32 v180, 0xffff, v185
	v_fma_f64 v[169:170], v[36:37], v[116:117], -v[169:170]
	s_wait_loadcnt_dscnt 0x402
	v_mul_f64_e32 v[183:184], v[60:61], v[94:95]
	v_mul_f64_e32 v[94:95], v[24:25], v[94:95]
	v_fma_f64 v[70:71], v[186:187], v[116:117], v[70:71]
	v_fma_f64 v[2:3], v[2:3], v[108:109], -v[171:172]
	s_wait_loadcnt 0x3
	v_mul_f64_e32 v[116:117], v[62:63], v[102:103]
	s_wait_loadcnt_dscnt 0x201
	v_mul_f64_e32 v[185:186], v[40:41], v[86:87]
	v_mul_f64_e32 v[102:103], v[26:27], v[102:103]
	;; [unrolled: 1-line block ×3, first 2 shown]
	v_fma_f64 v[128:129], v[38:39], v[120:121], -v[128:129]
	s_wait_loadcnt 0x1
	v_mul_f64_e32 v[196:197], v[42:43], v[106:107]
	v_fma_f64 v[120:121], v[188:189], v[120:121], v[122:123]
	s_wait_loadcnt_dscnt 0x0
	v_mul_f64_e32 v[122:123], v[74:75], v[114:115]
	v_fma_f64 v[108:109], v[134:135], v[108:109], v[110:111]
	v_mul_f64_e32 v[106:107], v[22:23], v[106:107]
	v_mul_f64_e32 v[110:111], v[140:141], v[114:115]
	v_mul_u32_u24_e32 v36, 0x288, v173
	v_lshlrev_b32_e32 v37, 3, v182
	v_fma_f64 v[66:67], v[32:33], v[88:89], -v[66:67]
	v_fma_f64 v[56:57], v[56:57], v[88:89], v[90:91]
	v_fma_f64 v[130:131], v[34:35], v[76:77], -v[130:131]
	v_mul_u32_u24_e32 v33, 0x288, v180
	v_mul_u32_u24_e32 v32, 0x288, v176
	v_lshlrev_b32_e32 v34, 3, v177
	v_lshlrev_b32_e32 v35, 3, v178
	s_delay_alu instid0(VALU_DEP_4)
	v_add3_u32 v209, 0, v33, v37
	v_fma_f64 v[114:115], v[28:29], v[80:81], -v[174:175]
	v_fma_f64 v[58:59], v[58:59], v[76:77], v[78:79]
	v_fma_f64 v[44:45], v[44:45], v[80:81], v[82:83]
	v_add_f64_e32 v[78:79], v[194:195], v[192:193]
	v_add_f64_e32 v[80:81], v[118:119], v[167:168]
	v_lshlrev_b32_e32 v28, 3, v179
	v_fma_f64 v[88:89], v[30:31], v[96:97], -v[126:127]
	v_fma_f64 v[46:47], v[46:47], v[96:97], v[98:99]
	v_lshlrev_b32_e32 v29, 3, v181
	v_add_f64_e32 v[82:83], v[169:170], v[165:166]
	v_fma_f64 v[90:91], v[24:25], v[92:93], -v[183:184]
	v_fma_f64 v[60:61], v[60:61], v[92:93], v[94:95]
	v_add_f64_e32 v[126:127], v[70:71], v[72:73]
	v_add_f64_e32 v[76:77], v[2:3], v[190:191]
	v_fma_f64 v[116:117], v[26:27], v[100:101], -v[116:117]
	v_fma_f64 v[20:21], v[20:21], v[84:85], -v[185:186]
	v_fma_f64 v[62:63], v[62:63], v[100:101], v[102:103]
	v_fma_f64 v[40:41], v[40:41], v[84:85], v[86:87]
	v_add_f64_e32 v[102:103], v[68:69], v[52:53]
	v_fma_f64 v[22:23], v[22:23], v[104:105], -v[196:197]
	v_add_f64_e32 v[84:85], v[12:13], v[2:3]
	v_fma_f64 v[122:123], v[140:141], v[112:113], -v[122:123]
	v_add_f64_e32 v[98:99], v[108:109], v[204:205]
	v_fma_f64 v[42:43], v[42:43], v[104:105], v[106:107]
	v_fma_f64 v[74:75], v[74:75], v[112:113], v[110:111]
	v_add_f64_e32 v[112:113], v[64:65], v[124:125]
	v_add_f64_e32 v[96:97], v[14:15], v[194:195]
	;; [unrolled: 1-line block ×3, first 2 shown]
	v_add3_u32 v203, 0, v203, v34
	v_add_f64_e32 v[86:87], v[128:129], v[66:67]
	v_add_f64_e32 v[179:180], v[120:121], v[56:57]
	v_add3_u32 v206, 0, v206, v35
	v_add3_u32 v208, 0, v32, v29
	ds_load_2addr_b64 v[32:35], v151 offset1:63
	ds_load_2addr_b64 v[24:27], v158 offset0:122 offset1:185
	v_add3_u32 v207, 0, v36, v28
	ds_load_2addr_b64 v[28:31], v160 offset0:124 offset1:187
	ds_load_2addr_b64 v[36:39], v151 offset0:126 offset1:189
	v_add_f64_e32 v[92:93], v[114:115], v[130:131]
	v_add_f64_e64 v[94:95], v[108:109], -v[204:205]
	v_add_f64_e32 v[183:184], v[44:45], v[58:59]
	v_fma_f64 v[14:15], v[78:79], -0.5, v[14:15]
	v_fma_f64 v[16:17], v[80:81], -0.5, v[16:17]
	v_add_f64_e32 v[110:111], v[18:19], v[169:170]
	v_add_f64_e32 v[140:141], v[8:9], v[128:129]
	v_add_f64_e64 v[2:3], v[2:3], -v[190:191]
	v_add_f64_e64 v[171:172], v[120:121], -v[56:57]
	v_fma_f64 v[18:19], v[82:83], -0.5, v[18:19]
	v_add_f64_e32 v[173:174], v[88:89], v[90:91]
	v_add_f64_e64 v[194:195], v[194:195], -v[192:193]
	v_add_f64_e64 v[118:119], v[118:119], -v[167:168]
	v_fma_f64 v[12:13], v[76:77], -0.5, v[12:13]
	v_add_f64_e32 v[76:77], v[46:47], v[60:61]
	v_add_f64_e32 v[177:178], v[20:21], v[116:117]
	s_wait_dscnt 0x3
	v_add_f64_e32 v[100:101], v[32:33], v[108:109]
	v_add_f64_e32 v[78:79], v[40:41], v[62:63]
	;; [unrolled: 1-line block ×4, first 2 shown]
	v_add_f64_e64 v[108:109], v[64:65], -v[124:125]
	v_add_f64_e32 v[181:182], v[22:23], v[122:123]
	v_fma_f64 v[32:33], v[98:99], -0.5, v[32:33]
	s_wait_dscnt 0x1
	v_add_f64_e32 v[185:186], v[30:31], v[44:45]
	v_add_f64_e32 v[80:81], v[42:43], v[74:75]
	v_add_f64_e64 v[68:69], v[68:69], -v[52:53]
	v_add_f64_e32 v[120:121], v[28:29], v[120:121]
	v_fma_f64 v[34:35], v[102:103], -0.5, v[34:35]
	v_add_f64_e32 v[196:197], v[6:7], v[20:21]
	v_fma_f64 v[8:9], v[86:87], -0.5, v[8:9]
	v_add_f64_e64 v[86:87], v[46:47], -v[60:61]
	v_add_f64_e32 v[46:47], v[24:25], v[46:47]
	s_wait_dscnt 0x0
	v_add_f64_e32 v[64:65], v[36:37], v[64:65]
	v_fma_f64 v[36:37], v[112:113], -0.5, v[36:37]
	v_add_f64_e32 v[134:135], v[38:39], v[70:71]
	v_add_f64_e64 v[70:71], v[70:71], -v[72:73]
	v_add_f64_e64 v[169:170], v[169:170], -v[165:166]
	v_fma_f64 v[38:39], v[126:127], -0.5, v[38:39]
	v_add_f64_e64 v[128:129], v[128:129], -v[66:67]
	v_fma_f64 v[28:29], v[179:180], -0.5, v[28:29]
	v_add_f64_e32 v[175:176], v[10:11], v[114:115]
	v_add_f64_e64 v[44:45], v[44:45], -v[58:59]
	v_fma_f64 v[10:11], v[92:93], -0.5, v[10:11]
	v_add_f64_e64 v[114:115], v[114:115], -v[130:131]
	v_fma_f64 v[30:31], v[183:184], -0.5, v[30:31]
	v_add_f64_e32 v[187:188], v[4:5], v[88:89]
	v_add_f64_e64 v[88:89], v[88:89], -v[90:91]
	v_add_f64_e32 v[92:93], v[26:27], v[40:41]
	v_fma_f64 v[4:5], v[173:174], -0.5, v[4:5]
	v_add_f64_e64 v[40:41], v[40:41], -v[62:63]
	v_add_f64_e64 v[20:21], v[20:21], -v[116:117]
	v_add_f64_e32 v[84:85], v[84:85], v[190:191]
	v_fma_f64 v[24:25], v[76:77], -0.5, v[24:25]
	v_fma_f64 v[6:7], v[177:178], -0.5, v[6:7]
	v_add_f64_e32 v[189:190], v[132:133], v[42:43]
	v_fma_f64 v[26:27], v[78:79], -0.5, v[26:27]
	v_add_f64_e64 v[42:43], v[42:43], -v[74:75]
	v_add_f64_e64 v[22:23], v[22:23], -v[122:123]
	v_add_f64_e32 v[102:103], v[110:111], v[165:166]
	v_fma_f64 v[0:1], v[181:182], -0.5, v[0:1]
	v_add_f64_e32 v[52:53], v[104:105], v[52:53]
	v_add_f64_e32 v[104:105], v[185:186], v[58:59]
	v_fma_f64 v[78:79], v[80:81], -0.5, v[132:133]
	v_add_f64_e32 v[80:81], v[82:83], v[122:123]
	v_add_f64_e32 v[82:83], v[100:101], v[204:205]
	v_fma_f64 v[58:59], v[108:109], s[2:3], v[16:17]
	v_fma_f64 v[16:17], v[108:109], s[6:7], v[16:17]
	;; [unrolled: 1-line block ×3, first 2 shown]
	v_add_f64_e32 v[96:97], v[96:97], v[192:193]
	v_add_f64_e32 v[110:111], v[46:47], v[60:61]
	v_fma_f64 v[46:47], v[94:95], s[2:3], v[12:13]
	v_fma_f64 v[12:13], v[94:95], s[6:7], v[12:13]
	v_fma_f64 v[94:95], v[2:3], s[6:7], v[32:33]
	v_add_f64_e32 v[100:101], v[120:121], v[56:57]
	v_fma_f64 v[56:57], v[68:69], s[2:3], v[14:15]
	v_fma_f64 v[112:113], v[194:195], s[6:7], v[34:35]
	v_add_f64_e32 v[76:77], v[196:197], v[116:117]
	v_fma_f64 v[14:15], v[68:69], s[6:7], v[14:15]
	v_fma_f64 v[116:117], v[194:195], s[2:3], v[34:35]
	v_add_f64_e32 v[98:99], v[106:107], v[167:168]
	v_add_f64_e32 v[64:65], v[64:65], v[124:125]
	v_fma_f64 v[120:121], v[118:119], s[6:7], v[36:37]
	v_fma_f64 v[118:119], v[118:119], s[2:3], v[36:37]
	v_add_f64_e32 v[72:73], v[134:135], v[72:73]
	v_fma_f64 v[60:61], v[70:71], s[2:3], v[18:19]
	v_fma_f64 v[122:123], v[169:170], s[6:7], v[38:39]
	v_fma_f64 v[18:19], v[70:71], s[6:7], v[18:19]
	v_fma_f64 v[124:125], v[169:170], s[2:3], v[38:39]
	v_add_f64_e32 v[66:67], v[140:141], v[66:67]
	v_fma_f64 v[68:69], v[171:172], s[2:3], v[8:9]
	v_fma_f64 v[126:127], v[128:129], s[6:7], v[28:29]
	;; [unrolled: 5-line block ×4, first 2 shown]
	v_fma_f64 v[4:5], v[86:87], s[6:7], v[4:5]
	v_fma_f64 v[88:89], v[88:89], s[2:3], v[24:25]
	;; [unrolled: 1-line block ×3, first 2 shown]
	v_add_f64_e32 v[92:93], v[92:93], v[62:63]
	v_fma_f64 v[134:135], v[20:21], s[6:7], v[26:27]
	v_fma_f64 v[6:7], v[40:41], s[6:7], v[6:7]
	;; [unrolled: 1-line block ×4, first 2 shown]
	v_add_f64_e32 v[74:75], v[189:190], v[74:75]
	v_fma_f64 v[140:141], v[22:23], s[6:7], v[78:79]
	v_fma_f64 v[0:1], v[42:43], s[6:7], v[0:1]
	;; [unrolled: 1-line block ×3, first 2 shown]
	global_wb scope:SCOPE_SE
	s_barrier_signal -1
	s_barrier_wait -1
	global_inv scope:SCOPE_SE
	ds_store_2addr_b64 v198, v[84:85], v[46:47] offset1:27
	ds_store_b64 v198, v[12:13] offset:432
	ds_store_2addr_b64 v200, v[96:97], v[56:57] offset1:27
	ds_store_b64 v200, v[14:15] offset:432
	;; [unrolled: 2-line block ×9, first 2 shown]
	global_wb scope:SCOPE_SE
	s_wait_dscnt 0x0
	s_barrier_signal -1
	s_barrier_wait -1
	global_inv scope:SCOPE_SE
	ds_load_b64 v[213:214], v151 offset:13104
	ds_load_2addr_b64 v[12:15], v151 offset1:63
	ds_load_2addr_b64 v[0:3], v154 offset0:120 offset1:183
	ds_load_2addr_b64 v[24:27], v153 offset0:110 offset1:173
	;; [unrolled: 1-line block ×12, first 2 shown]
	global_wb scope:SCOPE_SE
	s_wait_dscnt 0x0
	s_barrier_signal -1
	s_barrier_wait -1
	global_inv scope:SCOPE_SE
	ds_store_2addr_b64 v198, v[82:83], v[94:95] offset1:27
	ds_store_b64 v198, v[108:109] offset:432
	ds_store_2addr_b64 v200, v[52:53], v[112:113] offset1:27
	ds_store_b64 v200, v[116:117] offset:432
	;; [unrolled: 2-line block ×9, first 2 shown]
	global_wb scope:SCOPE_SE
	s_wait_dscnt 0x0
	s_barrier_signal -1
	s_barrier_wait -1
	global_inv scope:SCOPE_SE
	s_clause 0x2
	global_load_b128 v[64:67], v[48:49], off offset:1264
	global_load_b128 v[82:85], v[48:49], off offset:1248
	;; [unrolled: 1-line block ×3, first 2 shown]
	v_mul_u32_u24_e32 v21, 0x6523, v149
	v_mul_u32_u24_e32 v52, 0x6523, v163
	v_mul_u32_u24_e32 v20, 0x6523, v161
	v_mul_u32_u24_e32 v22, 0x6523, v162
	v_mul_u32_u24_e32 v23, 0x6523, v164
	v_lshrrev_b32_e32 v217, 21, v21
	v_lshrrev_b32_e32 v21, 21, v52
	global_load_b128 v[50:53], v[50:51], off offset:1248
	v_lshrrev_b32_e32 v20, 21, v20
	v_lshrrev_b32_e32 v218, 21, v22
	v_mul_lo_u16 v22, 0x51, v215
	v_lshrrev_b32_e32 v219, 21, v23
	v_mul_lo_u16 v23, 0x51, v216
	v_mul_lo_u16 v20, 0x51, v20
	;; [unrolled: 1-line block ×3, first 2 shown]
	v_sub_nc_u16 v22, v137, v22
	v_mul_lo_u16 v48, 0x51, v218
	v_sub_nc_u16 v23, v150, v23
	v_sub_nc_u16 v20, v144, v20
	v_mul_lo_u16 v49, 0x51, v219
	v_and_b32_e32 v220, 0xff, v22
	v_mul_lo_u16 v21, 0x51, v21
	v_and_b32_e32 v221, 0xff, v23
	v_and_b32_e32 v222, 0xffff, v20
	v_sub_nc_u16 v22, v145, v55
	v_sub_nc_u16 v23, v146, v48
	v_lshlrev_b32_e32 v48, 5, v220
	v_lshlrev_b32_e32 v55, 5, v221
	;; [unrolled: 1-line block ×3, first 2 shown]
	v_sub_nc_u16 v49, v147, v49
	v_and_b32_e32 v223, 0xffff, v22
	s_clause 0x2
	global_load_b128 v[104:107], v48, s[4:5] offset:1248
	global_load_b128 v[108:111], v48, s[4:5] offset:1264
	;; [unrolled: 1-line block ×3, first 2 shown]
	v_sub_nc_u16 v21, v148, v21
	s_clause 0x1
	global_load_b128 v[128:131], v20, s[4:5] offset:1248
	global_load_b128 v[132:135], v20, s[4:5] offset:1264
	v_and_b32_e32 v224, 0xffff, v23
	v_and_b32_e32 v225, 0xffff, v49
	v_lshlrev_b32_e32 v22, 5, v223
	v_and_b32_e32 v226, 0xffff, v21
	global_load_b128 v[120:123], v55, s[4:5] offset:1248
	v_lshlrev_b32_e32 v20, 5, v224
	v_lshlrev_b32_e32 v21, 5, v225
	s_clause 0x3
	global_load_b128 v[144:147], v22, s[4:5] offset:1264
	global_load_b128 v[161:164], v22, s[4:5] offset:1248
	;; [unrolled: 1-line block ×4, first 2 shown]
	v_lshlrev_b32_e32 v20, 5, v226
	s_clause 0x3
	global_load_b128 v[173:176], v21, s[4:5] offset:1264
	global_load_b128 v[177:180], v21, s[4:5] offset:1248
	;; [unrolled: 1-line block ×4, first 2 shown]
	ds_load_2addr_b64 v[72:75], v153 offset0:110 offset1:173
	ds_load_2addr_b64 v[112:115], v155 offset0:118 offset1:181
	;; [unrolled: 1-line block ×9, first 2 shown]
	s_wait_loadcnt_dscnt 0x1108
	v_mul_f64_e32 v[48:49], v[72:73], v[66:67]
	v_mul_f64_e32 v[66:67], v[24:25], v[66:67]
	s_wait_loadcnt 0xf
	v_mul_f64_e32 v[76:77], v[74:75], v[70:71]
	v_mul_f64_e32 v[70:71], v[26:27], v[70:71]
	s_wait_dscnt 0x6
	v_mul_f64_e32 v[88:89], v[22:23], v[84:85]
	v_mul_f64_e32 v[84:85], v[2:3], v[84:85]
	s_wait_loadcnt 0xe
	v_mul_f64_e32 v[80:81], v[112:113], v[52:53]
	v_mul_f64_e32 v[52:53], v[28:29], v[52:53]
	s_wait_loadcnt 0xd
	v_mul_f64_e32 v[90:91], v[114:115], v[106:107]
	s_wait_loadcnt_dscnt 0xc05
	v_mul_f64_e32 v[92:93], v[189:190], v[110:111]
	s_wait_loadcnt 0xb
	v_mul_f64_e32 v[94:95], v[191:192], v[118:119]
	v_mul_f64_e32 v[126:127], v[32:33], v[110:111]
	v_fma_f64 v[78:79], v[24:25], v[64:65], -v[48:49]
	ds_load_b64 v[24:25], v151 offset:13104
	v_fma_f64 v[76:77], v[26:27], v[68:69], -v[76:77]
	s_wait_loadcnt_dscnt 0xa05
	v_mul_f64_e32 v[26:27], v[195:196], v[130:131]
	s_wait_loadcnt 0x8
	v_mul_f64_e32 v[48:49], v[193:194], v[122:123]
	v_fma_f64 v[72:73], v[72:73], v[64:65], v[66:67]
	s_wait_dscnt 0x4
	v_mul_f64_e32 v[64:65], v[197:198], v[134:135]
	v_fma_f64 v[74:75], v[74:75], v[68:69], v[70:71]
	s_wait_loadcnt 0x7
	v_mul_f64_e32 v[66:67], v[199:200], v[146:147]
	s_wait_loadcnt_dscnt 0x603
	v_mul_f64_e32 v[68:69], v[201:202], v[163:164]
	v_fma_f64 v[80:81], v[28:29], v[50:51], -v[80:81]
	s_wait_loadcnt_dscnt 0x302
	v_mul_f64_e32 v[28:29], v[207:208], v[175:176]
	v_mul_f64_e32 v[70:71], v[203:204], v[167:168]
	v_mul_f64_e32 v[124:125], v[205:206], v[171:172]
	v_fma_f64 v[86:87], v[112:113], v[50:51], v[52:53]
	s_wait_loadcnt_dscnt 0x201
	v_mul_f64_e32 v[50:51], v[209:210], v[179:180]
	v_fma_f64 v[96:97], v[2:3], v[82:83], -v[88:89]
	s_wait_loadcnt 0x1
	v_mul_f64_e32 v[2:3], v[211:212], v[183:184]
	v_fma_f64 v[102:103], v[22:23], v[82:83], v[84:85]
	s_wait_loadcnt_dscnt 0x0
	v_mul_f64_e32 v[52:53], v[24:25], v[187:188]
	v_fma_f64 v[22:23], v[30:31], v[104:105], -v[90:91]
	v_mul_f64_e32 v[30:31], v[30:31], v[106:107]
	v_fma_f64 v[84:85], v[32:33], v[108:109], -v[92:93]
	;; [unrolled: 2-line block ×6, first 2 shown]
	v_fma_f64 v[92:93], v[42:43], v[144:145], -v[66:67]
	v_mul_f64_e32 v[38:39], v[42:43], v[146:147]
	v_mul_f64_e32 v[40:41], v[44:45], v[163:164]
	v_fma_f64 v[100:101], v[44:45], v[161:162], -v[68:69]
	v_fma_f64 v[106:107], v[58:59], v[173:174], -v[28:29]
	v_mul_f64_e32 v[28:29], v[58:59], v[175:176]
	v_fma_f64 v[98:99], v[46:47], v[165:166], -v[70:71]
	v_mul_f64_e32 v[42:43], v[46:47], v[167:168]
	v_mul_f64_e32 v[44:45], v[56:57], v[171:172]
	v_fma_f64 v[110:111], v[56:57], v[169:170], -v[124:125]
	v_mul_f64_e32 v[46:47], v[60:61], v[179:180]
	v_fma_f64 v[118:119], v[60:61], v[177:178], -v[50:51]
	v_fma_f64 v[112:113], v[62:63], v[181:182], -v[2:3]
	v_mul_f64_e32 v[2:3], v[62:63], v[183:184]
	v_mul_f64_e32 v[48:49], v[213:214], v[187:188]
	v_fma_f64 v[122:123], v[213:214], v[185:186], -v[52:53]
	v_lshlrev_b32_e32 v65, 3, v54
	s_wait_alu 0xf1ff
	v_cndmask_b32_e64 v64, 0, 0x798, s0
	v_mul_u32_u24_e32 v68, 0x798, v217
	v_mul_u32_u24_e32 v69, 0x798, v218
	;; [unrolled: 1-line block ×3, first 2 shown]
	v_lshl_add_u32 v163, v222, 3, 0
	v_cmp_gt_u32_e64 s0, 54, v136
	v_fma_f64 v[124:125], v[114:115], v[104:105], v[30:31]
	v_add_f64_e32 v[30:31], v[80:81], v[76:77]
	v_fma_f64 v[114:115], v[189:190], v[108:109], v[126:127]
	v_fma_f64 v[116:117], v[191:192], v[116:117], v[32:33]
	v_add_f64_e32 v[32:33], v[22:23], v[84:85]
	v_fma_f64 v[126:127], v[193:194], v[120:121], v[34:35]
	v_add_nc_u32_e32 v168, 0x1400, v163
	v_add_f64_e32 v[50:51], v[8:9], v[88:89]
	v_fma_f64 v[128:129], v[195:196], v[128:129], v[26:27]
	v_add_f64_e32 v[26:27], v[96:97], v[78:79]
	v_add_f64_e32 v[34:35], v[90:91], v[82:83]
	v_fma_f64 v[120:121], v[197:198], v[132:133], v[36:37]
	v_add_f64_e32 v[36:37], v[88:89], v[94:95]
	v_fma_f64 v[130:131], v[199:200], v[144:145], v[38:39]
	v_fma_f64 v[132:133], v[201:202], v[161:162], v[40:41]
	v_add_f64_e32 v[40:41], v[12:13], v[96:97]
	v_add_f64_e32 v[52:53], v[10:11], v[100:101]
	v_fma_f64 v[140:141], v[207:208], v[173:174], v[28:29]
	v_add_f64_e32 v[28:29], v[100:101], v[92:93]
	v_fma_f64 v[142:143], v[203:204], v[165:166], v[42:43]
	v_fma_f64 v[134:135], v[205:206], v[169:170], v[44:45]
	v_add_f64_e32 v[38:39], v[98:99], v[110:111]
	v_fma_f64 v[146:147], v[209:210], v[177:178], v[46:47]
	v_add_f64_e64 v[42:43], v[102:103], -v[72:73]
	v_add_f64_e32 v[56:57], v[6:7], v[118:119]
	v_fma_f64 v[148:149], v[211:212], v[181:182], v[2:3]
	v_add_f64_e32 v[2:3], v[118:119], v[106:107]
	v_fma_f64 v[144:145], v[24:25], v[185:186], v[48:49]
	v_add_f64_e32 v[24:25], v[112:113], v[122:123]
	v_add_f64_e32 v[44:45], v[14:15], v[80:81]
	;; [unrolled: 1-line block ×6, first 2 shown]
	v_add3_u32 v161, 0, v64, v65
	v_lshlrev_b32_e32 v165, 3, v220
	v_lshlrev_b32_e32 v166, 3, v221
	v_lshl_add_u32 v162, v226, 3, 0
	v_fma_f64 v[14:15], v[30:31], -0.5, v[14:15]
	v_add_f64_e64 v[30:31], v[124:125], -v[114:115]
	v_fma_f64 v[16:17], v[32:33], -0.5, v[16:17]
	v_add_f64_e64 v[32:33], v[126:127], -v[116:117]
	v_add_nc_u32_e32 v170, 0x2c00, v162
	v_add_f64_e32 v[66:67], v[50:51], v[94:95]
	v_fma_f64 v[12:13], v[26:27], -0.5, v[12:13]
	v_add_f64_e64 v[26:27], v[86:87], -v[74:75]
	v_fma_f64 v[18:19], v[34:35], -0.5, v[18:19]
	v_add_f64_e64 v[34:35], v[128:129], -v[120:121]
	;; [unrolled: 2-line block ×3, first 2 shown]
	v_add_f64_e32 v[40:41], v[40:41], v[78:79]
	v_add_f64_e32 v[52:53], v[52:53], v[92:93]
	v_fma_f64 v[10:11], v[28:29], -0.5, v[10:11]
	v_add_f64_e64 v[28:29], v[142:143], -v[134:135]
	v_fma_f64 v[4:5], v[38:39], -0.5, v[4:5]
	v_add_f64_e64 v[38:39], v[146:147], -v[140:141]
	;; [unrolled: 2-line block ×3, first 2 shown]
	v_fma_f64 v[24:25], v[24:25], -0.5, v[0:1]
	v_and_b32_e32 v0, 0xffff, v215
	v_and_b32_e32 v1, 0xffff, v216
	v_add_f64_e32 v[44:45], v[44:45], v[76:77]
	v_add_f64_e32 v[6:7], v[58:59], v[122:123]
	;; [unrolled: 1-line block ×3, first 2 shown]
	v_mul_u32_u24_e32 v71, 0x798, v0
	v_mul_u32_u24_e32 v164, 0x798, v1
	v_add_f64_e32 v[0:1], v[56:57], v[106:107]
	v_add_f64_e32 v[64:65], v[48:49], v[82:83]
	;; [unrolled: 1-line block ×3, first 2 shown]
	v_add3_u32 v169, 0, v71, v165
	v_add3_u32 v167, 0, v164, v166
	v_fma_f64 v[104:105], v[30:31], s[2:3], v[16:17]
	v_fma_f64 v[30:31], v[30:31], s[6:7], v[16:17]
	;; [unrolled: 1-line block ×10, first 2 shown]
	v_lshlrev_b32_e32 v12, 3, v223
	v_fma_f64 v[173:174], v[36:37], s[2:3], v[10:11]
	v_fma_f64 v[36:37], v[36:37], s[6:7], v[10:11]
	v_lshlrev_b32_e32 v13, 3, v224
	v_fma_f64 v[175:176], v[28:29], s[2:3], v[4:5]
	v_fma_f64 v[28:29], v[28:29], s[6:7], v[4:5]
	v_lshlrev_b32_e32 v14, 3, v225
	v_add3_u32 v166, 0, v68, v12
	v_add3_u32 v165, 0, v69, v13
	v_fma_f64 v[2:3], v[38:39], s[2:3], v[60:61]
	v_fma_f64 v[4:5], v[38:39], s[6:7], v[60:61]
	;; [unrolled: 1-line block ×4, first 2 shown]
	v_add3_u32 v164, 0, v70, v14
	ds_load_2addr_b64 v[16:19], v160 offset0:124 offset1:187
	ds_load_2addr_b64 v[68:71], v151 offset1:63
	ds_load_2addr_b64 v[48:51], v151 offset0:126 offset1:189
	ds_load_2addr_b64 v[12:15], v158 offset0:122 offset1:185
	global_wb scope:SCOPE_SE
	s_wait_dscnt 0x0
	s_barrier_signal -1
	s_barrier_wait -1
	global_inv scope:SCOPE_SE
	ds_store_2addr_b64 v151, v[40:41], v[56:57] offset1:81
	ds_store_b64 v151, v[42:43] offset:1296
	ds_store_2addr_b64 v161, v[44:45], v[58:59] offset1:81
	ds_store_b64 v161, v[26:27] offset:1296
	;; [unrolled: 2-line block ×4, first 2 shown]
	ds_store_2addr_b64 v168, v[66:67], v[171:172] offset0:89 offset1:170
	ds_store_b64 v163, v[34:35] offset:7128
	ds_store_2addr_b64 v166, v[52:53], v[173:174] offset1:81
	ds_store_b64 v166, v[36:37] offset:1296
	ds_store_2addr_b64 v165, v[54:55], v[175:176] offset1:81
	;; [unrolled: 2-line block ×3, first 2 shown]
	ds_store_b64 v164, v[4:5] offset:1296
	ds_store_2addr_b64 v170, v[6:7], v[8:9] offset0:50 offset1:131
	ds_store_b64 v162, v[10:11] offset:12960
	global_wb scope:SCOPE_SE
	s_wait_dscnt 0x0
	s_barrier_signal -1
	s_barrier_wait -1
	global_inv scope:SCOPE_SE
	ds_load_b64 v[108:109], v151 offset:12672
	ds_load_2addr_b64 v[28:31], v151 offset1:63
	ds_load_2addr_b64 v[24:27], v151 offset0:126 offset1:243
	ds_load_2addr_b64 v[44:47], v154 offset0:102 offset1:165
	;; [unrolled: 1-line block ×9, first 2 shown]
                                        ; implicit-def: $vgpr104_vgpr105
	s_and_saveexec_b32 s1, s0
	s_cbranch_execz .LBB0_13
; %bb.12:
	v_add_nc_u32_e32 v0, 0x5c0, v151
	v_add_nc_u32_e32 v4, 0x1500, v151
	ds_load_2addr_b64 v[8:11], v152 offset0:9 offset1:252
	ds_load_2addr_b64 v[0:3], v0 offset0:5 offset1:248
	;; [unrolled: 1-line block ×3, first 2 shown]
	ds_load_b64 v[104:105], v151 offset:13176
.LBB0_13:
	s_wait_alu 0xfffe
	s_or_b32 exec_lo, exec_lo, s1
	v_add_f64_e32 v[171:172], v[102:103], v[72:73]
	v_add_f64_e32 v[173:174], v[86:87], v[74:75]
	;; [unrolled: 1-line block ×10, first 2 shown]
	v_add_f64_e64 v[78:79], v[96:97], -v[78:79]
	v_add_f64_e32 v[86:87], v[70:71], v[86:87]
	v_add_f64_e32 v[96:97], v[48:49], v[124:125]
	v_add_f64_e64 v[76:77], v[80:81], -v[76:77]
	v_add_f64_e64 v[22:23], v[22:23], -v[84:85]
	v_add_f64_e32 v[124:125], v[50:51], v[126:127]
	v_add_f64_e64 v[80:81], v[90:91], -v[82:83]
	v_add_f64_e32 v[126:127], v[16:17], v[128:129]
	;; [unrolled: 2-line block ×6, first 2 shown]
	v_add_f64_e64 v[100:101], v[112:113], -v[122:123]
	global_wb scope:SCOPE_SE
	s_wait_dscnt 0x0
	s_barrier_signal -1
	s_barrier_wait -1
	global_inv scope:SCOPE_SE
	v_fma_f64 v[68:69], v[171:172], -0.5, v[68:69]
	v_fma_f64 v[70:71], v[173:174], -0.5, v[70:71]
	;; [unrolled: 1-line block ×9, first 2 shown]
	v_add_f64_e32 v[72:73], v[102:103], v[72:73]
	v_add_f64_e32 v[74:75], v[86:87], v[74:75]
	;; [unrolled: 1-line block ×9, first 2 shown]
	v_fma_f64 v[114:115], v[78:79], s[6:7], v[68:69]
	v_fma_f64 v[68:69], v[78:79], s[2:3], v[68:69]
	v_fma_f64 v[78:79], v[76:77], s[6:7], v[70:71]
	v_fma_f64 v[70:71], v[76:77], s[2:3], v[70:71]
	v_fma_f64 v[76:77], v[22:23], s[6:7], v[48:49]
	v_fma_f64 v[48:49], v[22:23], s[2:3], v[48:49]
	v_fma_f64 v[116:117], v[80:81], s[6:7], v[50:51]
	v_fma_f64 v[50:51], v[80:81], s[2:3], v[50:51]
	v_fma_f64 v[80:81], v[82:83], s[6:7], v[16:17]
	v_fma_f64 v[82:83], v[82:83], s[2:3], v[16:17]
	v_fma_f64 v[118:119], v[84:85], s[6:7], v[88:89]
	v_fma_f64 v[84:85], v[84:85], s[2:3], v[88:89]
	v_fma_f64 v[88:89], v[90:91], s[6:7], v[92:93]
	v_fma_f64 v[90:91], v[90:91], s[2:3], v[92:93]
	v_fma_f64 v[14:15], v[94:95], s[6:7], v[98:99]
	v_fma_f64 v[16:17], v[94:95], s[2:3], v[98:99]
	v_fma_f64 v[20:21], v[100:101], s[6:7], v[106:107]
	v_fma_f64 v[22:23], v[100:101], s[2:3], v[106:107]
                                        ; implicit-def: $vgpr106_vgpr107
	ds_store_2addr_b64 v151, v[72:73], v[114:115] offset1:81
	ds_store_b64 v151, v[68:69] offset:1296
	ds_store_2addr_b64 v161, v[74:75], v[78:79] offset1:81
	ds_store_b64 v161, v[70:71] offset:1296
	;; [unrolled: 2-line block ×4, first 2 shown]
	ds_store_2addr_b64 v168, v[102:103], v[80:81] offset0:89 offset1:170
	ds_store_b64 v163, v[82:83] offset:7128
	ds_store_2addr_b64 v166, v[110:111], v[118:119] offset1:81
	ds_store_b64 v166, v[84:85] offset:1296
	ds_store_2addr_b64 v165, v[112:113], v[88:89] offset1:81
	;; [unrolled: 2-line block ×3, first 2 shown]
	ds_store_b64 v164, v[16:17] offset:1296
	ds_store_2addr_b64 v170, v[18:19], v[20:21] offset0:50 offset1:131
	ds_store_b64 v162, v[22:23] offset:12960
	global_wb scope:SCOPE_SE
	s_wait_dscnt 0x0
	s_barrier_signal -1
	s_barrier_wait -1
	global_inv scope:SCOPE_SE
	ds_load_2addr_b64 v[48:51], v151 offset1:63
	ds_load_2addr_b64 v[68:71], v151 offset0:126 offset1:243
	ds_load_2addr_b64 v[88:91], v154 offset0:102 offset1:165
	;; [unrolled: 1-line block ×9, first 2 shown]
	ds_load_b64 v[112:113], v151 offset:12672
	s_and_saveexec_b32 s1, s0
	s_cbranch_execz .LBB0_15
; %bb.14:
	v_add_nc_u32_e32 v12, 0x5c0, v151
	v_add_nc_u32_e32 v16, 0x1500, v151
	;; [unrolled: 1-line block ×3, first 2 shown]
	ds_load_2addr_b64 v[12:15], v12 offset0:5 offset1:248
	ds_load_2addr_b64 v[16:19], v16 offset0:3 offset1:246
	;; [unrolled: 1-line block ×3, first 2 shown]
	ds_load_b64 v[106:107], v151 offset:13176
.LBB0_15:
	s_wait_alu 0xfffe
	s_or_b32 exec_lo, exec_lo, s1
	s_and_saveexec_b32 s1, vcc_lo
	s_cbranch_execz .LBB0_18
; %bb.16:
	v_mul_u32_u24_e32 v110, 6, v137
	s_mov_b32 s12, 0xe976ee23
	s_mov_b32 s20, 0x37e14327
	;; [unrolled: 1-line block ×4, first 2 shown]
	v_dual_mov_b32 v111, 0 :: v_dual_lshlrev_b32 v148, 4, v110
	v_mul_u32_u24_e32 v110, 6, v136
	s_mov_b32 s13, 0xbfe11646
	s_mov_b32 s21, 0x3fe948f6
	global_load_b128 v[114:117], v148, s[4:5] offset:3920
	s_mov_b32 s15, 0x3fac98ee
	v_lshlrev_b32_e32 v149, 4, v110
	v_mad_u32_u24 v110, v137, 6, 0xfffffe86
	s_mov_b32 s19, 0x3febfeb5
	s_mov_b32 s6, 0xb247c609
	;; [unrolled: 1-line block ×3, first 2 shown]
	global_load_b128 v[118:121], v149, s[4:5] offset:3920
	v_lshlrev_b64_e32 v[134:135], 4, v[110:111]
	s_clause 0x5
	global_load_b128 v[122:125], v148, s[4:5] offset:3840
	global_load_b128 v[126:129], v149, s[4:5] offset:3840
	;; [unrolled: 1-line block ×6, first 2 shown]
	s_mov_b32 s24, 0x5476071b
	s_mov_b32 s7, 0x3fd5d0dc
	;; [unrolled: 1-line block ×3, first 2 shown]
	v_add_co_u32 v134, vcc_lo, s4, v134
	s_wait_alu 0xfffd
	v_add_co_ci_u32_e32 v135, vcc_lo, s5, v135, vcc_lo
	s_clause 0x9
	global_load_b128 v[155:158], v148, s[4:5] offset:3888
	global_load_b128 v[159:162], v148, s[4:5] offset:3872
	global_load_b128 v[163:166], v[134:135], off offset:3920
	global_load_b128 v[167:170], v[134:135], off offset:3840
	;; [unrolled: 1-line block ×4, first 2 shown]
	global_load_b128 v[179:182], v149, s[4:5] offset:3888
	global_load_b128 v[183:186], v149, s[4:5] offset:3872
	global_load_b128 v[187:190], v[134:135], off offset:3888
	global_load_b128 v[191:194], v[134:135], off offset:3872
	s_mov_b32 s17, 0xbfd5d0dc
	s_mov_b32 s25, 0xbfe77f67
	;; [unrolled: 1-line block ×3, first 2 shown]
	s_wait_alu 0xfffe
	s_mov_b32 s16, s6
	s_mov_b32 s22, s24
	;; [unrolled: 1-line block ×4, first 2 shown]
	s_wait_loadcnt_dscnt 0x1100
	v_mul_f64_e32 v[134:135], v[112:113], v[116:117]
	v_mul_f64_e32 v[116:117], v[108:109], v[116:117]
	s_wait_loadcnt 0xd
	v_mul_f64_e32 v[199:200], v[54:55], v[132:133]
	v_mul_f64_e32 v[148:149], v[100:101], v[120:121]
	;; [unrolled: 1-line block ×7, first 2 shown]
	s_wait_loadcnt 0xc
	v_mul_f64_e32 v[201:202], v[40:41], v[142:143]
	s_wait_loadcnt 0xb
	v_mul_f64_e32 v[203:204], v[86:87], v[146:147]
	v_mul_f64_e32 v[146:147], v[66:67], v[146:147]
	s_wait_loadcnt 0xa
	v_mul_f64_e32 v[205:206], v[44:45], v[153:154]
	;; [unrolled: 3-line block ×4, first 2 shown]
	s_wait_loadcnt 0x5
	v_mul_f64_e32 v[215:216], v[90:91], v[173:174]
	v_mul_f64_e32 v[169:170], v[56:57], v[169:170]
	s_wait_loadcnt 0x4
	v_mul_f64_e32 v[217:218], v[52:53], v[177:178]
	v_mul_f64_e32 v[132:133], v[98:99], v[132:133]
	;; [unrolled: 1-line block ×6, first 2 shown]
	v_fma_f64 v[108:109], v[108:109], v[114:115], -v[134:135]
	v_mul_f64_e32 v[134:135], v[46:47], v[173:174]
	v_fma_f64 v[112:113], v[112:113], v[114:115], v[116:117]
	v_mul_f64_e32 v[114:115], v[96:97], v[177:178]
	v_mul_f64_e32 v[116:117], v[38:39], v[161:162]
	v_fma_f64 v[98:99], v[98:99], v[130:131], v[199:200]
	v_fma_f64 v[60:61], v[60:61], v[118:119], -v[148:149]
	v_fma_f64 v[100:101], v[100:101], v[118:119], v[120:121]
	s_wait_loadcnt 0x3
	v_mul_f64_e32 v[118:119], v[72:73], v[181:182]
	s_wait_loadcnt 0x2
	v_mul_f64_e32 v[120:121], v[82:83], v[185:186]
	v_fma_f64 v[58:59], v[58:59], v[122:123], -v[195:196]
	v_fma_f64 v[94:95], v[94:95], v[122:123], v[124:125]
	v_mul_f64_e32 v[122:123], v[42:43], v[185:186]
	v_mul_f64_e32 v[124:125], v[32:33], v[181:182]
	v_fma_f64 v[26:27], v[26:27], v[126:127], -v[197:198]
	v_fma_f64 v[70:71], v[70:71], v[126:127], v[128:129]
	v_fma_f64 v[80:81], v[80:81], v[140:141], v[201:202]
	v_fma_f64 v[66:67], v[66:67], v[144:145], -v[203:204]
	v_fma_f64 v[86:87], v[86:87], v[144:145], v[146:147]
	v_fma_f64 v[88:89], v[88:89], v[151:152], v[205:206]
	v_fma_f64 v[44:45], v[44:45], v[151:152], -v[153:154]
	s_wait_loadcnt 0x1
	v_mul_f64_e32 v[126:127], v[74:75], v[189:190]
	s_wait_loadcnt 0x0
	v_mul_f64_e32 v[128:129], v[76:77], v[193:194]
	v_mul_f64_e32 v[144:145], v[36:37], v[193:194]
	;; [unrolled: 1-line block ×3, first 2 shown]
	v_fma_f64 v[62:63], v[62:63], v[163:164], -v[211:212]
	v_fma_f64 v[102:103], v[102:103], v[163:164], v[165:166]
	v_fma_f64 v[56:57], v[56:57], v[167:168], -v[213:214]
	v_fma_f64 v[92:93], v[92:93], v[167:168], v[169:170]
	v_fma_f64 v[96:97], v[96:97], v[175:176], v[217:218]
	v_fma_f64 v[46:47], v[46:47], v[171:172], -v[215:216]
	v_fma_f64 v[54:55], v[54:55], v[130:131], -v[132:133]
	v_fma_f64 v[40:41], v[40:41], v[140:141], -v[142:143]
	v_fma_f64 v[64:65], v[64:65], v[155:156], -v[207:208]
	v_fma_f64 v[38:39], v[38:39], v[159:160], -v[209:210]
	v_fma_f64 v[84:85], v[84:85], v[155:156], v[157:158]
	v_fma_f64 v[90:91], v[90:91], v[171:172], v[134:135]
	v_fma_f64 v[52:53], v[52:53], v[175:176], -v[114:115]
	v_fma_f64 v[78:79], v[78:79], v[159:160], v[116:117]
	v_fma_f64 v[32:33], v[32:33], v[179:180], -v[118:119]
	v_fma_f64 v[42:43], v[42:43], v[183:184], -v[120:121]
	v_add_f64_e32 v[114:115], v[94:95], v[112:113]
	v_fma_f64 v[82:83], v[82:83], v[183:184], v[122:123]
	v_fma_f64 v[72:73], v[72:73], v[179:180], v[124:125]
	v_add_f64_e32 v[122:123], v[26:27], v[60:61]
	v_add_f64_e32 v[118:119], v[70:71], v[100:101]
	;; [unrolled: 1-line block ×3, first 2 shown]
	v_add_f64_e64 v[60:61], v[26:27], -v[60:61]
	v_add_f64_e64 v[70:71], v[70:71], -v[100:101]
	v_add_f64_e32 v[120:121], v[88:89], v[86:87]
	v_add_f64_e32 v[124:125], v[44:45], v[66:67]
	v_fma_f64 v[34:35], v[34:35], v[187:188], -v[126:127]
	v_fma_f64 v[36:37], v[36:37], v[191:192], -v[128:129]
	v_fma_f64 v[76:77], v[76:77], v[191:192], v[144:145]
	v_fma_f64 v[74:75], v[74:75], v[187:188], v[146:147]
	v_add_f64_e64 v[126:127], v[58:59], -v[108:109]
	v_add_f64_e32 v[58:59], v[58:59], v[108:109]
	v_add_f64_e32 v[134:135], v[56:57], v[62:63]
	;; [unrolled: 1-line block ×3, first 2 shown]
	v_add_f64_e64 v[44:45], v[44:45], -v[66:67]
	v_add_f64_e64 v[56:57], v[56:57], -v[62:63]
	;; [unrolled: 1-line block ×4, first 2 shown]
	v_add_f64_e32 v[40:41], v[40:41], v[54:55]
	v_add_f64_e64 v[128:129], v[64:65], -v[38:39]
	v_add_f64_e32 v[38:39], v[64:65], v[38:39]
	v_add_f64_e64 v[54:55], v[94:95], -v[112:113]
	v_add_f64_e32 v[132:133], v[90:91], v[96:97]
	v_add_f64_e32 v[140:141], v[46:47], v[52:53]
	;; [unrolled: 1-line block ×3, first 2 shown]
	v_add_f64_e64 v[64:65], v[84:85], -v[78:79]
	v_add_f64_e64 v[78:79], v[80:81], -v[98:99]
	;; [unrolled: 1-line block ×4, first 2 shown]
	v_add_f64_e32 v[32:33], v[32:33], v[42:43]
	v_add_f64_e32 v[66:67], v[72:73], v[82:83]
	v_add_f64_e64 v[42:43], v[72:73], -v[82:83]
	v_add_f64_e64 v[72:73], v[88:89], -v[86:87]
	v_add_f64_e32 v[26:27], v[114:115], v[116:117]
	v_add_f64_e32 v[82:83], v[118:119], v[120:121]
	;; [unrolled: 1-line block ×3, first 2 shown]
	v_add_f64_e64 v[86:87], v[34:35], -v[36:37]
	v_add_f64_e32 v[34:35], v[34:35], v[36:37]
	v_add_f64_e32 v[52:53], v[74:75], v[76:77]
	v_add_f64_e64 v[36:37], v[74:75], -v[76:77]
	v_add_f64_e64 v[74:75], v[90:91], -v[96:97]
	;; [unrolled: 1-line block ×3, first 2 shown]
	v_add_f64_e32 v[100:101], v[58:59], v[40:41]
	v_add_f64_e64 v[92:93], v[128:129], -v[142:143]
	v_add_f64_e32 v[94:95], v[128:129], v[142:143]
	v_add_f64_e64 v[102:103], v[58:59], -v[38:39]
	;; [unrolled: 2-line block ×4, first 2 shown]
	v_add_f64_e64 v[98:99], v[144:145], -v[116:117]
	v_add_f64_e64 v[142:143], v[142:143], -v[126:127]
	;; [unrolled: 1-line block ×14, first 2 shown]
	v_add_f64_e32 v[144:145], v[144:145], v[26:27]
	v_add_f64_e32 v[44:45], v[80:81], v[44:45]
	;; [unrolled: 1-line block ×4, first 2 shown]
	v_add_f64_e64 v[80:81], v[70:71], -v[42:43]
	v_add_f64_e64 v[26:27], v[86:87], -v[46:47]
	;; [unrolled: 1-line block ×4, first 2 shown]
	v_add_f64_e32 v[42:43], v[42:43], v[72:73]
	v_add_f64_e64 v[163:164], v[36:37], -v[74:75]
	v_add_f64_e64 v[167:168], v[74:75], -v[62:63]
	;; [unrolled: 1-line block ×6, first 2 shown]
	v_add_f64_e32 v[64:65], v[64:65], v[78:79]
	v_add_f64_e32 v[38:39], v[38:39], v[100:101]
	v_add_f64_e64 v[78:79], v[78:79], -v[54:55]
	v_add_f64_e64 v[120:121], v[124:125], -v[122:123]
	;; [unrolled: 1-line block ×3, first 2 shown]
	v_add_f64_e32 v[88:89], v[52:53], v[88:89]
	v_add_f64_e64 v[52:53], v[130:131], -v[52:53]
	v_add_f64_e32 v[90:91], v[34:35], v[90:91]
	v_add_f64_e32 v[46:47], v[86:87], v[46:47]
	;; [unrolled: 1-line block ×3, first 2 shown]
	v_mul_f64_e32 v[86:87], s[12:13], v[92:93]
	v_mul_f64_e32 v[92:93], s[14:15], v[98:99]
	;; [unrolled: 1-line block ×4, first 2 shown]
	v_add_f64_e64 v[124:125], v[62:63], -v[36:37]
	v_add_f64_e64 v[130:131], v[132:133], -v[130:131]
	v_mul_f64_e32 v[58:59], s[12:13], v[58:59]
	v_mul_f64_e32 v[132:133], s[14:15], v[146:147]
	;; [unrolled: 1-line block ×4, first 2 shown]
	v_add_f64_e64 v[134:135], v[140:141], -v[134:135]
	v_mul_f64_e32 v[146:147], s[12:13], v[148:149]
	v_mul_f64_e32 v[148:149], s[18:19], v[151:152]
	;; [unrolled: 1-line block ×3, first 2 shown]
	v_add_f64_e32 v[32:33], v[68:69], v[144:145]
	v_mul_f64_e32 v[68:69], s[20:21], v[155:156]
	v_add_f64_e32 v[36:37], v[48:49], v[66:67]
	v_add_f64_e32 v[34:35], v[28:29], v[82:83]
	;; [unrolled: 1-line block ×3, first 2 shown]
	v_mul_f64_e32 v[126:127], s[12:13], v[26:27]
	v_mul_f64_e32 v[84:85], s[14:15], v[84:85]
	;; [unrolled: 1-line block ×10, first 2 shown]
	v_add_f64_e32 v[44:45], v[60:61], v[44:45]
	v_mul_f64_e32 v[175:176], s[18:19], v[78:79]
	v_add_f64_e32 v[42:43], v[70:71], v[42:43]
	v_add_f64_e32 v[54:55], v[54:55], v[64:65]
	v_add_f64_e32 v[28:29], v[50:51], v[88:89]
	v_mul_f64_e32 v[50:51], s[20:21], v[52:53]
	v_add_f64_e32 v[26:27], v[30:31], v[90:91]
	v_add_f64_e32 v[30:31], v[24:25], v[38:39]
	;; [unrolled: 1-line block ×4, first 2 shown]
	v_fma_f64 v[60:61], v[76:77], s[6:7], v[86:87]
	v_fma_f64 v[62:63], v[96:97], s[20:21], v[92:93]
	v_fma_f64 v[24:25], v[76:77], s[16:17], -v[98:99]
	v_fma_f64 v[70:71], v[114:115], s[24:25], -v[100:101]
	s_wait_alu 0xfffe
	v_fma_f64 v[74:75], v[114:115], s[22:23], -v[92:93]
	v_fma_f64 v[76:77], v[142:143], s[18:19], -v[86:87]
	v_fma_f64 v[86:87], v[159:160], s[6:7], v[58:59]
	v_fma_f64 v[96:97], v[157:158], s[20:21], v[132:133]
	;; [unrolled: 1-line block ×3, first 2 shown]
	v_fma_f64 v[142:143], v[120:121], s[24:25], -v[171:172]
	v_fma_f64 v[98:99], v[80:81], s[6:7], v[146:147]
	v_fma_f64 v[100:101], v[159:160], s[16:17], -v[148:149]
	v_fma_f64 v[80:81], v[80:81], s[16:17], -v[169:170]
	v_fma_f64 v[114:115], v[144:145], s[10:11], v[32:33]
	v_fma_f64 v[68:69], v[72:73], s[24:25], -v[68:69]
	v_fma_f64 v[58:59], v[151:152], s[18:19], -v[58:59]
	v_fma_f64 v[66:67], v[66:67], s[10:11], v[36:37]
	v_fma_f64 v[82:83], v[82:83], s[10:11], v[34:35]
	v_fma_f64 v[72:73], v[72:73], s[22:23], -v[116:117]
	v_fma_f64 v[144:145], v[153:154], s[18:19], -v[146:147]
	;; [unrolled: 1-line block ×3, first 2 shown]
	v_fma_f64 v[120:121], v[122:123], s[6:7], v[126:127]
	v_fma_f64 v[52:53], v[52:53], s[20:21], v[84:85]
	v_fma_f64 v[118:119], v[118:119], s[20:21], v[140:141]
	v_fma_f64 v[132:133], v[124:125], s[6:7], v[161:162]
	v_fma_f64 v[122:123], v[122:123], s[16:17], -v[163:164]
	v_fma_f64 v[126:127], v[165:166], s[18:19], -v[126:127]
	;; [unrolled: 1-line block ×6, first 2 shown]
	v_fma_f64 v[64:65], v[102:103], s[20:21], v[108:109]
	v_fma_f64 v[88:89], v[88:89], s[10:11], v[28:29]
	v_fma_f64 v[50:51], v[130:131], s[24:25], -v[50:51]
	v_fma_f64 v[90:91], v[90:91], s[10:11], v[26:27]
	v_fma_f64 v[130:131], v[134:135], s[22:23], -v[140:141]
	v_fma_f64 v[102:103], v[112:113], s[6:7], v[128:129]
	v_fma_f64 v[38:39], v[38:39], s[10:11], v[30:31]
	v_fma_f64 v[48:49], v[40:41], s[24:25], -v[48:49]
	v_fma_f64 v[112:113], v[112:113], s[16:17], -v[175:176]
	;; [unrolled: 1-line block ×4, first 2 shown]
	v_fma_f64 v[108:109], v[94:95], s[2:3], v[60:61]
	v_fma_f64 v[24:25], v[94:95], s[2:3], v[24:25]
	;; [unrolled: 1-line block ×7, first 2 shown]
	v_add_f64_e32 v[128:129], v[62:63], v[114:115]
	v_add_f64_e32 v[62:63], v[70:71], v[114:115]
	v_add_f64_e32 v[70:71], v[74:75], v[114:115]
	v_fma_f64 v[74:75], v[44:45], s[2:3], v[58:59]
	v_add_f64_e32 v[92:93], v[92:93], v[66:67]
	v_add_f64_e32 v[96:97], v[96:97], v[82:83]
	;; [unrolled: 1-line block ×4, first 2 shown]
	v_fma_f64 v[42:43], v[42:43], s[2:3], v[144:145]
	v_add_f64_e32 v[82:83], v[116:117], v[82:83]
	v_fma_f64 v[114:115], v[46:47], s[2:3], v[120:121]
	v_fma_f64 v[116:117], v[56:57], s[2:3], v[132:133]
	;; [unrolled: 1-line block ×4, first 2 shown]
	v_add_f64_e32 v[98:99], v[68:69], v[66:67]
	v_fma_f64 v[122:123], v[56:57], s[2:3], v[124:125]
	v_fma_f64 v[124:125], v[56:57], s[2:3], v[146:147]
	v_mul_hi_u32 v44, 0x86d90545, v137
	v_mov_b32_e32 v137, v111
	v_add_f64_e32 v[126:127], v[52:53], v[88:89]
	v_add_f64_e32 v[50:51], v[50:51], v[88:89]
	v_add_f64_e32 v[118:119], v[118:119], v[90:91]
	v_add_f64_e32 v[132:133], v[148:149], v[90:91]
	v_add_f64_e32 v[134:135], v[84:85], v[88:89]
	v_add_f64_e32 v[130:131], v[130:131], v[90:91]
	v_fma_f64 v[102:103], v[54:55], s[2:3], v[102:103]
	v_add_f64_e32 v[144:145], v[64:65], v[38:39]
	v_fma_f64 v[140:141], v[54:55], s[2:3], v[112:113]
	v_add_f64_e32 v[146:147], v[48:49], v[38:39]
	;; [unrolled: 2-line block ×3, first 2 shown]
	v_lshrrev_b32_e32 v110, 7, v44
	s_delay_alu instid0(VALU_DEP_1)
	v_mul_u32_u24_e32 v110, 0x5b2, v110
	v_add_f64_e32 v[40:41], v[108:109], v[128:129]
	v_add_f64_e32 v[44:45], v[24:25], v[62:63]
	v_add_f64_e64 v[56:57], v[62:63], -v[24:25]
	v_add_f64_e64 v[48:49], v[70:71], -v[60:61]
	v_add_f64_e32 v[52:53], v[60:61], v[70:71]
	v_add_f64_e32 v[78:79], v[94:95], v[96:97]
	v_add_f64_e64 v[62:63], v[100:101], -v[80:81]
	v_add_f64_e64 v[68:69], v[72:73], -v[74:75]
	v_add_f64_e32 v[72:73], v[74:75], v[72:73]
	v_add_f64_e32 v[74:75], v[80:81], v[100:101]
	v_add_f64_e64 v[80:81], v[92:93], -v[86:87]
	v_add_f64_e32 v[66:67], v[42:43], v[82:83]
	v_add_f64_e64 v[70:71], v[82:83], -v[42:43]
	v_add_f64_e32 v[60:61], v[86:87], v[92:93]
	v_add_f64_e32 v[64:65], v[76:77], v[98:99]
	v_add_f64_e64 v[76:77], v[98:99], -v[76:77]
	v_add_f64_e64 v[58:59], v[96:97], -v[94:95]
	v_lshlrev_b64_e32 v[24:25], 4, v[136:137]
	v_add_f64_e64 v[84:85], v[126:127], -v[114:115]
	v_add_f64_e64 v[88:89], v[50:51], -v[120:121]
	v_add_f64_e32 v[82:83], v[116:117], v[118:119]
	v_add_f64_e32 v[86:87], v[122:123], v[132:133]
	;; [unrolled: 1-line block ×3, first 2 shown]
	v_add_f64_e64 v[90:91], v[130:131], -v[124:125]
	v_add_f64_e64 v[96:97], v[134:135], -v[46:47]
	v_add_f64_e32 v[94:95], v[124:125], v[130:131]
	v_add_f64_e32 v[100:101], v[120:121], v[50:51]
	v_add_f64_e64 v[98:99], v[132:133], -v[122:123]
	v_add_f64_e32 v[114:115], v[114:115], v[126:127]
	v_add_f64_e64 v[112:113], v[118:119], -v[116:117]
	v_add_f64_e64 v[118:119], v[128:129], -v[108:109]
	v_add_f64_e32 v[116:117], v[102:103], v[144:145]
	v_add_f64_e32 v[54:55], v[140:141], v[146:147]
	v_add_f64_e64 v[50:51], v[38:39], -v[142:143]
	v_add_f64_e32 v[46:47], v[142:143], v[38:39]
	v_add_f64_e64 v[42:43], v[146:147], -v[140:141]
	v_add_f64_e64 v[38:39], v[144:145], -v[102:103]
	v_add_co_u32 v108, vcc_lo, s8, v138
	s_wait_alu 0xfffd
	v_add_co_ci_u32_e32 v109, vcc_lo, s9, v139, vcc_lo
	v_lshlrev_b64_e32 v[102:103], 4, v[110:111]
	s_delay_alu instid0(VALU_DEP_3) | instskip(SKIP_1) | instid1(VALU_DEP_3)
	v_add_co_u32 v24, vcc_lo, v108, v24
	s_wait_alu 0xfffd
	v_add_co_ci_u32_e32 v25, vcc_lo, v109, v25, vcc_lo
	s_delay_alu instid0(VALU_DEP_2) | instskip(SKIP_1) | instid1(VALU_DEP_2)
	v_add_co_u32 v102, vcc_lo, v24, v102
	s_wait_alu 0xfffd
	v_add_co_ci_u32_e32 v103, vcc_lo, v25, v103, vcc_lo
	s_clause 0x14
	global_store_b128 v[24:25], v[34:37], off
	global_store_b128 v[24:25], v[26:29], off offset:1008
	global_store_b128 v[24:25], v[78:81], off offset:3888
	;; [unrolled: 1-line block ×20, first 2 shown]
	s_and_b32 exec_lo, exec_lo, s0
	s_cbranch_execz .LBB0_18
; %bb.17:
	v_subrev_nc_u32_e32 v26, 54, v136
	s_delay_alu instid0(VALU_DEP_1) | instskip(NEXT) | instid1(VALU_DEP_1)
	v_cndmask_b32_e64 v26, v26, v150, s0
	v_mul_i32_i24_e32 v110, 6, v26
	s_delay_alu instid0(VALU_DEP_1) | instskip(NEXT) | instid1(VALU_DEP_1)
	v_lshlrev_b64_e32 v[26:27], 4, v[110:111]
	v_add_co_u32 v46, vcc_lo, s4, v26
	s_wait_alu 0xfffd
	s_delay_alu instid0(VALU_DEP_2)
	v_add_co_ci_u32_e32 v47, vcc_lo, s5, v27, vcc_lo
	s_clause 0x5
	global_load_b128 v[26:29], v[46:47], off offset:3840
	global_load_b128 v[30:33], v[46:47], off offset:3856
	;; [unrolled: 1-line block ×6, first 2 shown]
	s_wait_loadcnt 0x5
	v_mul_f64_e32 v[50:51], v[14:15], v[28:29]
	v_mul_f64_e32 v[28:29], v[2:3], v[28:29]
	s_wait_loadcnt 0x4
	v_mul_f64_e32 v[52:53], v[16:17], v[32:33]
	v_mul_f64_e32 v[32:33], v[4:5], v[32:33]
	s_wait_loadcnt 0x3
	v_mul_f64_e32 v[54:55], v[106:107], v[36:37]
	v_mul_f64_e32 v[36:37], v[104:105], v[36:37]
	s_wait_loadcnt 0x2
	v_mul_f64_e32 v[56:57], v[22:23], v[40:41]
	v_mul_f64_e32 v[40:41], v[10:11], v[40:41]
	s_wait_loadcnt 0x1
	v_mul_f64_e32 v[58:59], v[18:19], v[44:45]
	v_mul_f64_e32 v[44:45], v[6:7], v[44:45]
	s_wait_loadcnt 0x0
	v_mul_f64_e32 v[60:61], v[20:21], v[48:49]
	v_mul_f64_e32 v[48:49], v[8:9], v[48:49]
	v_fma_f64 v[2:3], v[2:3], v[26:27], -v[50:51]
	v_fma_f64 v[14:15], v[14:15], v[26:27], v[28:29]
	v_fma_f64 v[4:5], v[4:5], v[30:31], -v[52:53]
	v_fma_f64 v[16:17], v[16:17], v[30:31], v[32:33]
	;; [unrolled: 2-line block ×6, first 2 shown]
	v_add_f64_e32 v[30:31], v[2:3], v[26:27]
	v_add_f64_e32 v[32:33], v[14:15], v[28:29]
	;; [unrolled: 1-line block ×4, first 2 shown]
	v_add_f64_e64 v[4:5], v[4:5], -v[10:11]
	v_add_f64_e64 v[10:11], v[16:17], -v[22:23]
	v_add_f64_e32 v[16:17], v[6:7], v[8:9]
	v_add_f64_e32 v[22:23], v[18:19], v[20:21]
	v_add_f64_e64 v[6:7], v[8:9], -v[6:7]
	v_add_f64_e64 v[8:9], v[20:21], -v[18:19]
	;; [unrolled: 1-line block ×4, first 2 shown]
	v_add_f64_e32 v[2:3], v[34:35], v[30:31]
	v_add_f64_e32 v[20:21], v[36:37], v[32:33]
	v_add_f64_e64 v[26:27], v[30:31], -v[16:17]
	v_add_f64_e64 v[28:29], v[32:33], -v[22:23]
	v_add_f64_e64 v[38:39], v[6:7], -v[4:5]
	v_add_f64_e64 v[40:41], v[8:9], -v[10:11]
	v_add_f64_e64 v[42:43], v[4:5], -v[18:19]
	v_add_f64_e64 v[44:45], v[10:11], -v[14:15]
	v_add_f64_e32 v[4:5], v[6:7], v[4:5]
	v_add_f64_e32 v[10:11], v[8:9], v[10:11]
	v_add_f64_e64 v[6:7], v[18:19], -v[6:7]
	v_add_f64_e64 v[8:9], v[14:15], -v[8:9]
	v_add_f64_e32 v[46:47], v[16:17], v[2:3]
	v_add_f64_e32 v[20:21], v[22:23], v[20:21]
	v_add_f64_e64 v[16:17], v[16:17], -v[34:35]
	v_add_f64_e64 v[22:23], v[22:23], -v[36:37]
	v_mul_f64_e32 v[26:27], s[20:21], v[26:27]
	v_mul_f64_e32 v[28:29], s[20:21], v[28:29]
	;; [unrolled: 1-line block ×6, first 2 shown]
	v_add_f64_e32 v[4:5], v[4:5], v[18:19]
	v_add_f64_e32 v[10:11], v[10:11], v[14:15]
	;; [unrolled: 1-line block ×4, first 2 shown]
	v_add_f64_e64 v[12:13], v[34:35], -v[30:31]
	v_add_f64_e64 v[30:31], v[36:37], -v[32:33]
	v_mul_f64_e32 v[32:33], s[14:15], v[16:17]
	v_mul_f64_e32 v[34:35], s[14:15], v[22:23]
	v_fma_f64 v[14:15], v[16:17], s[14:15], v[26:27]
	v_fma_f64 v[16:17], v[22:23], s[14:15], v[28:29]
	;; [unrolled: 1-line block ×4, first 2 shown]
	v_fma_f64 v[36:37], v[42:43], s[18:19], -v[38:39]
	v_fma_f64 v[38:39], v[44:45], s[18:19], -v[40:41]
	v_fma_f64 v[6:7], v[6:7], s[16:17], -v[48:49]
	v_fma_f64 v[8:9], v[8:9], s[16:17], -v[50:51]
	v_fma_f64 v[40:41], v[46:47], s[10:11], v[0:1]
	v_fma_f64 v[20:21], v[20:21], s[10:11], v[2:3]
	v_fma_f64 v[26:27], v[12:13], s[24:25], -v[26:27]
	v_fma_f64 v[28:29], v[30:31], s[24:25], -v[28:29]
	;; [unrolled: 1-line block ×4, first 2 shown]
	v_fma_f64 v[32:33], v[4:5], s[2:3], v[18:19]
	v_fma_f64 v[34:35], v[10:11], s[2:3], v[22:23]
	;; [unrolled: 1-line block ×6, first 2 shown]
	v_add_f64_e32 v[42:43], v[14:15], v[40:41]
	v_add_f64_e32 v[44:45], v[16:17], v[20:21]
	;; [unrolled: 1-line block ×7, first 2 shown]
	v_add_f64_e64 v[6:7], v[44:45], -v[32:33]
	v_add_f64_e32 v[8:9], v[38:39], v[26:27]
	v_add_f64_e64 v[10:11], v[28:29], -v[36:37]
	v_add_f64_e64 v[12:13], v[16:17], -v[22:23]
	v_add_f64_e32 v[14:15], v[18:19], v[20:21]
	v_add_f64_e32 v[16:17], v[22:23], v[16:17]
	v_add_f64_e64 v[18:19], v[20:21], -v[18:19]
	v_add_f64_e64 v[20:21], v[26:27], -v[38:39]
	v_add_f64_e32 v[22:23], v[36:37], v[28:29]
	v_add_f64_e64 v[26:27], v[42:43], -v[34:35]
	v_add_f64_e32 v[28:29], v[32:33], v[44:45]
	s_clause 0x6
	global_store_b128 v[24:25], v[0:3], off offset:3024
	global_store_b128 v[24:25], v[4:7], off offset:6912
	;; [unrolled: 1-line block ×7, first 2 shown]
.LBB0_18:
	s_nop 0
	s_sendmsg sendmsg(MSG_DEALLOC_VGPRS)
	s_endpgm
	.section	.rodata,"a",@progbits
	.p2align	6, 0x0
	.amdhsa_kernel fft_rtc_fwd_len1701_factors_3_3_3_3_3_7_wgs_63_tpt_63_halfLds_dp_ip_CI_unitstride_sbrr_dirReg
		.amdhsa_group_segment_fixed_size 0
		.amdhsa_private_segment_fixed_size 0
		.amdhsa_kernarg_size 88
		.amdhsa_user_sgpr_count 2
		.amdhsa_user_sgpr_dispatch_ptr 0
		.amdhsa_user_sgpr_queue_ptr 0
		.amdhsa_user_sgpr_kernarg_segment_ptr 1
		.amdhsa_user_sgpr_dispatch_id 0
		.amdhsa_user_sgpr_private_segment_size 0
		.amdhsa_wavefront_size32 1
		.amdhsa_uses_dynamic_stack 0
		.amdhsa_enable_private_segment 0
		.amdhsa_system_sgpr_workgroup_id_x 1
		.amdhsa_system_sgpr_workgroup_id_y 0
		.amdhsa_system_sgpr_workgroup_id_z 0
		.amdhsa_system_sgpr_workgroup_info 0
		.amdhsa_system_vgpr_workitem_id 0
		.amdhsa_next_free_vgpr 227
		.amdhsa_next_free_sgpr 32
		.amdhsa_reserve_vcc 1
		.amdhsa_float_round_mode_32 0
		.amdhsa_float_round_mode_16_64 0
		.amdhsa_float_denorm_mode_32 3
		.amdhsa_float_denorm_mode_16_64 3
		.amdhsa_fp16_overflow 0
		.amdhsa_workgroup_processor_mode 1
		.amdhsa_memory_ordered 1
		.amdhsa_forward_progress 0
		.amdhsa_round_robin_scheduling 0
		.amdhsa_exception_fp_ieee_invalid_op 0
		.amdhsa_exception_fp_denorm_src 0
		.amdhsa_exception_fp_ieee_div_zero 0
		.amdhsa_exception_fp_ieee_overflow 0
		.amdhsa_exception_fp_ieee_underflow 0
		.amdhsa_exception_fp_ieee_inexact 0
		.amdhsa_exception_int_div_zero 0
	.end_amdhsa_kernel
	.text
.Lfunc_end0:
	.size	fft_rtc_fwd_len1701_factors_3_3_3_3_3_7_wgs_63_tpt_63_halfLds_dp_ip_CI_unitstride_sbrr_dirReg, .Lfunc_end0-fft_rtc_fwd_len1701_factors_3_3_3_3_3_7_wgs_63_tpt_63_halfLds_dp_ip_CI_unitstride_sbrr_dirReg
                                        ; -- End function
	.section	.AMDGPU.csdata,"",@progbits
; Kernel info:
; codeLenInByte = 18500
; NumSgprs: 34
; NumVgprs: 227
; ScratchSize: 0
; MemoryBound: 1
; FloatMode: 240
; IeeeMode: 1
; LDSByteSize: 0 bytes/workgroup (compile time only)
; SGPRBlocks: 4
; VGPRBlocks: 28
; NumSGPRsForWavesPerEU: 34
; NumVGPRsForWavesPerEU: 227
; Occupancy: 6
; WaveLimiterHint : 1
; COMPUTE_PGM_RSRC2:SCRATCH_EN: 0
; COMPUTE_PGM_RSRC2:USER_SGPR: 2
; COMPUTE_PGM_RSRC2:TRAP_HANDLER: 0
; COMPUTE_PGM_RSRC2:TGID_X_EN: 1
; COMPUTE_PGM_RSRC2:TGID_Y_EN: 0
; COMPUTE_PGM_RSRC2:TGID_Z_EN: 0
; COMPUTE_PGM_RSRC2:TIDIG_COMP_CNT: 0
	.text
	.p2alignl 7, 3214868480
	.fill 96, 4, 3214868480
	.type	__hip_cuid_b57e9302725b5c76,@object ; @__hip_cuid_b57e9302725b5c76
	.section	.bss,"aw",@nobits
	.globl	__hip_cuid_b57e9302725b5c76
__hip_cuid_b57e9302725b5c76:
	.byte	0                               ; 0x0
	.size	__hip_cuid_b57e9302725b5c76, 1

	.ident	"AMD clang version 19.0.0git (https://github.com/RadeonOpenCompute/llvm-project roc-6.4.0 25133 c7fe45cf4b819c5991fe208aaa96edf142730f1d)"
	.section	".note.GNU-stack","",@progbits
	.addrsig
	.addrsig_sym __hip_cuid_b57e9302725b5c76
	.amdgpu_metadata
---
amdhsa.kernels:
  - .args:
      - .actual_access:  read_only
        .address_space:  global
        .offset:         0
        .size:           8
        .value_kind:     global_buffer
      - .offset:         8
        .size:           8
        .value_kind:     by_value
      - .actual_access:  read_only
        .address_space:  global
        .offset:         16
        .size:           8
        .value_kind:     global_buffer
      - .actual_access:  read_only
        .address_space:  global
        .offset:         24
        .size:           8
        .value_kind:     global_buffer
      - .offset:         32
        .size:           8
        .value_kind:     by_value
      - .actual_access:  read_only
        .address_space:  global
        .offset:         40
        .size:           8
        .value_kind:     global_buffer
      - .actual_access:  read_only
        .address_space:  global
        .offset:         48
        .size:           8
        .value_kind:     global_buffer
      - .offset:         56
        .size:           4
        .value_kind:     by_value
      - .actual_access:  read_only
        .address_space:  global
        .offset:         64
        .size:           8
        .value_kind:     global_buffer
      - .actual_access:  read_only
        .address_space:  global
        .offset:         72
        .size:           8
        .value_kind:     global_buffer
      - .address_space:  global
        .offset:         80
        .size:           8
        .value_kind:     global_buffer
    .group_segment_fixed_size: 0
    .kernarg_segment_align: 8
    .kernarg_segment_size: 88
    .language:       OpenCL C
    .language_version:
      - 2
      - 0
    .max_flat_workgroup_size: 63
    .name:           fft_rtc_fwd_len1701_factors_3_3_3_3_3_7_wgs_63_tpt_63_halfLds_dp_ip_CI_unitstride_sbrr_dirReg
    .private_segment_fixed_size: 0
    .sgpr_count:     34
    .sgpr_spill_count: 0
    .symbol:         fft_rtc_fwd_len1701_factors_3_3_3_3_3_7_wgs_63_tpt_63_halfLds_dp_ip_CI_unitstride_sbrr_dirReg.kd
    .uniform_work_group_size: 1
    .uses_dynamic_stack: false
    .vgpr_count:     227
    .vgpr_spill_count: 0
    .wavefront_size: 32
    .workgroup_processor_mode: 1
amdhsa.target:   amdgcn-amd-amdhsa--gfx1201
amdhsa.version:
  - 1
  - 2
...

	.end_amdgpu_metadata
